;; amdgpu-corpus repo=ROCm/Tensile kind=harvested arch=n/a opt=n/a

/******************************************/
/* Function Prefix                        */
/******************************************/



/******************************************/
/* Begin Kernel                           */
/******************************************/

// Component.Signature.SignatureDefault
.amdgcn_target "amdgcn-amd-amdhsa--gfx90a"
.text
.protected Cijk_Ailk_Bljk_ZB_MT128x8x8_MI4x4x4x4_SN_1LDSB1_APM1_ABV0_ACED0_AF0EM1_AF1EM1_AMAS0_ASE_ASGT_ASLT19_ASEM1_AAC0_BL1_BS1_CLR0_DTVA0_DVO0_ETSP_EPS1_EMLL0_FL1_GLVWA1_GLVWB1_GRPM1_GRVW1_GSU1_GSUASB_GLS0_ISA90a_IU1_K1_KLA_LBSPPA0_LBSPPB128_LPA0_LPB1_LDL1_LRVW1_LWPMn1_LDW0_FMA_MIAV0_MO40_MMFGLC_NTA0_NTB0_NTC0_NTD0_NEPBS4_NLCA2_NLCB1_ONLL1_OPLV0_PK0_PAP0_PGR2_PLR3_SIA3_SS1_SU0_SUM0_SUS0_SCIUI1_SPO0_SRVW0_SSO0_SVW1_SNLL0_TSGRA0_TSGRB0_TT16_4_TLDS1_UMLDSA0_UMLDSB1_USFGROn1_VAW1_VSn1_VW1_VWB1_VFLRP0_WSGRA0_WSGRB0_WG8_8_1_WGM8
.globl Cijk_Ailk_Bljk_ZB_MT128x8x8_MI4x4x4x4_SN_1LDSB1_APM1_ABV0_ACED0_AF0EM1_AF1EM1_AMAS0_ASE_ASGT_ASLT19_ASEM1_AAC0_BL1_BS1_CLR0_DTVA0_DVO0_ETSP_EPS1_EMLL0_FL1_GLVWA1_GLVWB1_GRPM1_GRVW1_GSU1_GSUASB_GLS0_ISA90a_IU1_K1_KLA_LBSPPA0_LBSPPB128_LPA0_LPB1_LDL1_LRVW1_LWPMn1_LDW0_FMA_MIAV0_MO40_MMFGLC_NTA0_NTB0_NTC0_NTD0_NEPBS4_NLCA2_NLCB1_ONLL1_OPLV0_PK0_PAP0_PGR2_PLR3_SIA3_SS1_SU0_SUM0_SUS0_SCIUI1_SPO0_SRVW0_SSO0_SVW1_SNLL0_TSGRA0_TSGRB0_TT16_4_TLDS1_UMLDSA0_UMLDSB1_USFGROn1_VAW1_VSn1_VW1_VWB1_VFLRP0_WSGRA0_WSGRB0_WG8_8_1_WGM8
.p2align 8
.type Cijk_Ailk_Bljk_ZB_MT128x8x8_MI4x4x4x4_SN_1LDSB1_APM1_ABV0_ACED0_AF0EM1_AF1EM1_AMAS0_ASE_ASGT_ASLT19_ASEM1_AAC0_BL1_BS1_CLR0_DTVA0_DVO0_ETSP_EPS1_EMLL0_FL1_GLVWA1_GLVWB1_GRPM1_GRVW1_GSU1_GSUASB_GLS0_ISA90a_IU1_K1_KLA_LBSPPA0_LBSPPB128_LPA0_LPB1_LDL1_LRVW1_LWPMn1_LDW0_FMA_MIAV0_MO40_MMFGLC_NTA0_NTB0_NTC0_NTD0_NEPBS4_NLCA2_NLCB1_ONLL1_OPLV0_PK0_PAP0_PGR2_PLR3_SIA3_SS1_SU0_SUM0_SUS0_SCIUI1_SPO0_SRVW0_SSO0_SVW1_SNLL0_TSGRA0_TSGRB0_TT16_4_TLDS1_UMLDSA0_UMLDSB1_USFGROn1_VAW1_VSn1_VW1_VWB1_VFLRP0_WSGRA0_WSGRB0_WG8_8_1_WGM8,@function
.section .rodata,#alloc
.p2align 6
.amdhsa_kernel Cijk_Ailk_Bljk_ZB_MT128x8x8_MI4x4x4x4_SN_1LDSB1_APM1_ABV0_ACED0_AF0EM1_AF1EM1_AMAS0_ASE_ASGT_ASLT19_ASEM1_AAC0_BL1_BS1_CLR0_DTVA0_DVO0_ETSP_EPS1_EMLL0_FL1_GLVWA1_GLVWB1_GRPM1_GRVW1_GSU1_GSUASB_GLS0_ISA90a_IU1_K1_KLA_LBSPPA0_LBSPPB128_LPA0_LPB1_LDL1_LRVW1_LWPMn1_LDW0_FMA_MIAV0_MO40_MMFGLC_NTA0_NTB0_NTC0_NTD0_NEPBS4_NLCA2_NLCB1_ONLL1_OPLV0_PK0_PAP0_PGR2_PLR3_SIA3_SS1_SU0_SUM0_SUS0_SCIUI1_SPO0_SRVW0_SSO0_SVW1_SNLL0_TSGRA0_TSGRB0_TT16_4_TLDS1_UMLDSA0_UMLDSB1_USFGROn1_VAW1_VSn1_VW1_VWB1_VFLRP0_WSGRA0_WSGRB0_WG8_8_1_WGM8
  .amdhsa_user_sgpr_kernarg_segment_ptr 1
  .amdhsa_user_sgpr_kernarg_preload_offset 0
  .amdhsa_user_sgpr_kernarg_preload_length 0
  .amdhsa_user_sgpr_count 2
  .amdhsa_accum_offset 256 // accvgpr offset
  .amdhsa_next_free_vgpr 320 // vgprs
  .amdhsa_next_free_sgpr 79 // sgprs
  .amdhsa_group_segment_fixed_size 17536 // lds bytes
  .amdhsa_private_segment_fixed_size 0
  .amdhsa_system_sgpr_workgroup_id_x 1
  .amdhsa_system_sgpr_workgroup_id_y 1
  .amdhsa_system_sgpr_workgroup_id_z 1
  .amdhsa_system_vgpr_workitem_id 0
  .amdhsa_float_denorm_mode_32 3
  .amdhsa_float_denorm_mode_16_64 3
.end_amdhsa_kernel
.text

/******************************************/
/* Optimizations and Config:              */
/******************************************/
/* ThreadTile= 16 x 1 */
/* SubGroup= 8 x 8 */
/* VectorWidthA=1 */
/* VectorWidthB=1 */
/* GlobalLoadVectorWidthA=1, GlobalLoadVectorWidthB=1 */
/* DirectToLdsA=False */
/* DirectToLdsB=False */
/* UseSgprForGRO=1 */
.amdgpu_metadata
---
amdhsa.version:
  - 1
  - 1
amdhsa.target: amdgcn-amd-amdhsa--gfx90a
amdhsa.kernels:
  - .name: Cijk_Ailk_Bljk_ZB_MT128x8x8_MI4x4x4x4_SN_1LDSB1_APM1_ABV0_ACED0_AF0EM1_AF1EM1_AMAS0_ASE_ASGT_ASLT19_ASEM1_AAC0_BL1_BS1_CLR0_DTVA0_DVO0_ETSP_EPS1_EMLL0_FL1_GLVWA1_GLVWB1_GRPM1_GRVW1_GSU1_GSUASB_GLS0_ISA90a_IU1_K1_KLA_LBSPPA0_LBSPPB128_LPA0_LPB1_LDL1_LRVW1_LWPMn1_LDW0_FMA_MIAV0_MO40_MMFGLC_NTA0_NTB0_NTC0_NTD0_NEPBS4_NLCA2_NLCB1_ONLL1_OPLV0_PK0_PAP0_PGR2_PLR3_SIA3_SS1_SU0_SUM0_SUS0_SCIUI1_SPO0_SRVW0_SSO0_SVW1_SNLL0_TSGRA0_TSGRB0_TT16_4_TLDS1_UMLDSA0_UMLDSB1_USFGROn1_VAW1_VSn1_VW1_VWB1_VFLRP0_WSGRA0_WSGRB0_WG8_8_1_WGM8
    .symbol: 'Cijk_Ailk_Bljk_ZB_MT128x8x8_MI4x4x4x4_SN_1LDSB1_APM1_ABV0_ACED0_AF0EM1_AF1EM1_AMAS0_ASE_ASGT_ASLT19_ASEM1_AAC0_BL1_BS1_CLR0_DTVA0_DVO0_ETSP_EPS1_EMLL0_FL1_GLVWA1_GLVWB1_GRPM1_GRVW1_GSU1_GSUASB_GLS0_ISA90a_IU1_K1_KLA_LBSPPA0_LBSPPB128_LPA0_LPB1_LDL1_LRVW1_LWPMn1_LDW0_FMA_MIAV0_MO40_MMFGLC_NTA0_NTB0_NTC0_NTD0_NEPBS4_NLCA2_NLCB1_ONLL1_OPLV0_PK0_PAP0_PGR2_PLR3_SIA3_SS1_SU0_SUM0_SUS0_SCIUI1_SPO0_SRVW0_SSO0_SVW1_SNLL0_TSGRA0_TSGRB0_TT16_4_TLDS1_UMLDSA0_UMLDSB1_USFGROn1_VAW1_VSn1_VW1_VWB1_VFLRP0_WSGRA0_WSGRB0_WG8_8_1_WGM8.kd'
    .language:                   OpenCL C
    .language_version:
      - 2
      - 0
    .args:
      - .name:            Tensor2dSizeA
        .size:            8
        .offset:          0
        .value_kind:      by_value
        .value_type:      u64
      - .name:            Tensor2dSizeB
        .size:            8
        .offset:          8
        .value_kind:      by_value
        .value_type:      u64
      - .name:            AddressD
        .size:            8
        .offset:          16
        .value_kind:      by_value
        .value_type:      u64
      - .name:            AddressC
        .size:            8
        .offset:          24
        .value_kind:      by_value
        .value_type:      u64
      - .name:            AddressA
        .size:            8
        .offset:          32
        .value_kind:      by_value
        .value_type:      u64
      - .name:            AddressB
        .size:            8
        .offset:          40
        .value_kind:      by_value
        .value_type:      u64
      - .name:            Alpha
        .size:            16
        .offset:          48
        .value_kind:      by_value
        .value_type:      u128
      - .name:            Beta
        .size:            16
        .offset:          64
        .value_kind:      by_value
        .value_type:      u128
      - .name:            StridesD
        .size:            8
        .offset:          80
        .value_kind:      by_value
        .value_type:      u64
      - .name:            StridesC
        .size:            8
        .offset:          88
        .value_kind:      by_value
        .value_type:      u64
      - .name:            StridesA
        .size:            8
        .offset:          96
        .value_kind:      by_value
        .value_type:      u64
      - .name:            StridesB
        .size:            8
        .offset:          104
        .value_kind:      by_value
        .value_type:      u64
      - .name:            SizesFree
        .size:            12
        .offset:          112
        .value_kind:      by_value
        .value_type:      u96
      - .name:            SizesSum
        .size:            4
        .offset:          124
        .value_kind:      by_value
        .value_type:      u32
      - .name:            NumWorkGroups0
        .size:            4
        .offset:          128
        .value_kind:      by_value
        .value_type:      u32
      - .name:            NumWorkGroups1
        .size:            4
        .offset:          132
        .value_kind:      by_value
        .value_type:      u32
      - .name:            NumFullBlocks
        .size:            4
        .offset:          136
        .value_kind:      by_value
        .value_type:      u32
      - .name:            WgmRemainder1
        .size:            4
        .offset:          140
        .value_kind:      by_value
        .value_type:      u32
      - .name:            MagicNumberWgmRemainder1
        .size:            4
        .offset:          144
        .value_kind:      by_value
        .value_type:      u32
    .group_segment_fixed_size:   17536
    .kernarg_segment_align:      8
    .kernarg_segment_size:       152
    .max_flat_workgroup_size:    64
    .private_segment_fixed_size: 0
    .sgpr_count:                 79
    .sgpr_spill_count:           0
    .vgpr_count:                 256
    .vgpr_spill_count:           0
    .wavefront_size:             64
...
.end_amdgpu_metadata
Cijk_Ailk_Bljk_ZB_MT128x8x8_MI4x4x4x4_SN_1LDSB1_APM1_ABV0_ACED0_AF0EM1_AF1EM1_AMAS0_ASE_ASGT_ASLT19_ASEM1_AAC0_BL1_BS1_CLR0_DTVA0_DVO0_ETSP_EPS1_EMLL0_FL1_GLVWA1_GLVWB1_GRPM1_GRVW1_GSU1_GSUASB_GLS0_ISA90a_IU1_K1_KLA_LBSPPA0_LBSPPB128_LPA0_LPB1_LDL1_LRVW1_LWPMn1_LDW0_FMA_MIAV0_MO40_MMFGLC_NTA0_NTB0_NTC0_NTD0_NEPBS4_NLCA2_NLCB1_ONLL1_OPLV0_PK0_PAP0_PGR2_PLR3_SIA3_SS1_SU0_SUM0_SUS0_SCIUI1_SPO0_SRVW0_SSO0_SVW1_SNLL0_TSGRA0_TSGRB0_TT16_4_TLDS1_UMLDSA0_UMLDSB1_USFGROn1_VAW1_VSn1_VW1_VWB1_VFLRP0_WSGRA0_WSGRB0_WG8_8_1_WGM8:

/******************************************/
/* Asm syntax workarounds                 */
/******************************************/
.macro _v_add_co_u32 dst:req, cc:req, src0:req, src1:req, dpp=
   v_add_co_u32 \dst, \cc, \src0, \src1 \dpp
.endm

.macro _v_add_u32 dst:req, src0:req, src1:req, dpp=
   v_add_u32 \dst, \src0, \src1 \dpp
.endm

.macro _v_add_i32 dst:req, src0:req, src1:req, dpp=
   v_add_i32 \dst, \src0, \src1 \dpp
.endm

.macro _v_addc_co_u32 dst:req, ccOut:req, src0:req, ccIn:req, src1:req, dpp=
   v_addc_co_u32 \dst, \ccOut, \src0, \ccIn, \src1 \dpp
.endm

.macro _v_sub_co_u32 dst:req, cc:req, src0:req, src1:req, dpp=
   v_sub_co_u32 \dst, \cc, \src0, \src1 \dpp
.endm

.macro _v_sub_u32 dst:req, src0:req, src1:req, dpp=
   v_sub_u32 \dst, \src0, \src1 \dpp
.endm

.macro _v_sub_i32 dst:req, src0:req, src1:req, dpp=
   v_sub_i32 \dst, \src0, \src1 \dpp
.endm

.macro _v_add_lshl_u32 dst:req, src0:req, src1:req, shiftCnt:req
    v_add_lshl_u32 \dst, \src0, \src1, \shiftCnt
.endm

.macro _v_lshl_add_u32 dst:req, src0:req, src1:req, shiftCnt:req
    v_lshl_add_u32 \dst, \src0, \src1, \shiftCnt
.endm

.macro _v_lshl_or_b32 dst:req, src0:req, shiftCnt:req, src1:req
    v_lshl_or_b32 \dst, \src0, \shiftCnt, \src1
.endm

.macro _v_dot2acc_f32_f16 dst, src0, src1
v_dot2c_f32_f16 \dst, \src0, \src1
.endm

.macro _v_cmpx_lt_i16 dst, src0, src1=
   v_cmpx_lt_i16 \dst, \src0, \src1 
.endm

.macro _v_cmpx_lt_i32 dst, src0, src1=
   v_cmpx_lt_i32 \dst, \src0, \src1 
.endm

.macro _v_cmpx_lt_i64 dst, src0, src1=
   v_cmpx_lt_i64 \dst, \src0, \src1 
.endm

.macro _v_cmpx_lt_u16 dst, src0, src1=
   v_cmpx_lt_u16 \dst, \src0, \src1 
.endm

.macro _v_cmpx_lt_u32 dst, src0, src1=
   v_cmpx_lt_u32 \dst, \src0, \src1 
.endm

.macro _v_cmpx_lt_u64 dst, src0, src1=
   v_cmpx_lt_u64 \dst, \src0, \src1 
.endm

.macro _v_cmpx_eq_i16 dst, src0, src1=
   v_cmpx_eq_i16 \dst, \src0, \src1 
.endm

.macro _v_cmpx_eq_i32 dst, src0, src1=
   v_cmpx_eq_i32 \dst, \src0, \src1 
.endm

.macro _v_cmpx_eq_i64 dst, src0, src1=
   v_cmpx_eq_i64 \dst, \src0, \src1 
.endm

.macro _v_cmpx_eq_u16 dst, src0, src1=
   v_cmpx_eq_u16 \dst, \src0, \src1 
.endm

.macro _v_cmpx_eq_u32 dst, src0, src1=
   v_cmpx_eq_u32 \dst, \src0, \src1 
.endm

.macro _v_cmpx_eq_u64 dst, src0, src1=
   v_cmpx_eq_u64 \dst, \src0, \src1 
.endm

.macro _v_cmpx_le_i16 dst, src0, src1=
   v_cmpx_le_i16 \dst, \src0, \src1 
.endm

.macro _v_cmpx_le_i32 dst, src0, src1=
   v_cmpx_le_i32 \dst, \src0, \src1 
.endm

.macro _v_cmpx_le_i64 dst, src0, src1=
   v_cmpx_le_i64 \dst, \src0, \src1 
.endm

.macro _v_cmpx_le_u16 dst, src0, src1=
   v_cmpx_le_u16 \dst, \src0, \src1 
.endm

.macro _v_cmpx_le_u32 dst, src0, src1=
   v_cmpx_le_u32 \dst, \src0, \src1 
.endm

.macro _v_cmpx_le_u64 dst, src0, src1=
   v_cmpx_le_u64 \dst, \src0, \src1 
.endm

.macro _v_cmpx_gt_i16 dst, src0, src1=
   v_cmpx_gt_i16 \dst, \src0, \src1 
.endm

.macro _v_cmpx_gt_i32 dst, src0, src1=
   v_cmpx_gt_i32 \dst, \src0, \src1 
.endm

.macro _v_cmpx_gt_i64 dst, src0, src1=
   v_cmpx_gt_i64 \dst, \src0, \src1 
.endm

.macro _v_cmpx_gt_u16 dst, src0, src1=
   v_cmpx_gt_u16 \dst, \src0, \src1 
.endm

.macro _v_cmpx_gt_u32 dst, src0, src1=
   v_cmpx_gt_u32 \dst, \src0, \src1 
.endm

.macro _v_cmpx_gt_u64 dst, src0, src1=
   v_cmpx_gt_u64 \dst, \src0, \src1 
.endm

.macro _v_cmpx_ne_i16 dst, src0, src1=
   v_cmpx_ne_i16 \dst, \src0, \src1 
.endm

.macro _v_cmpx_ne_i32 dst, src0, src1=
   v_cmpx_ne_i32 \dst, \src0, \src1 
.endm

.macro _v_cmpx_ne_i64 dst, src0, src1=
   v_cmpx_ne_i64 \dst, \src0, \src1 
.endm

.macro _v_cmpx_ne_u16 dst, src0, src1=
   v_cmpx_ne_u16 \dst, \src0, \src1 
.endm

.macro _v_cmpx_ne_u32 dst, src0, src1=
   v_cmpx_ne_u32 \dst, \src0, \src1 
.endm

.macro _v_cmpx_ne_u64 dst, src0, src1=
   v_cmpx_ne_u64 \dst, \src0, \src1 
.endm

.macro _v_cmpx_lg_i16 dst, src0, src1=
   v_cmpx_lg_i16 \dst, \src0, \src1 
.endm

.macro _v_cmpx_lg_i32 dst, src0, src1=
   v_cmpx_lg_i32 \dst, \src0, \src1 
.endm

.macro _v_cmpx_lg_i64 dst, src0, src1=
   v_cmpx_lg_i64 \dst, \src0, \src1 
.endm

.macro _v_cmpx_lg_u16 dst, src0, src1=
   v_cmpx_lg_u16 \dst, \src0, \src1 
.endm

.macro _v_cmpx_lg_u32 dst, src0, src1=
   v_cmpx_lg_u32 \dst, \src0, \src1 
.endm

.macro _v_cmpx_lg_u64 dst, src0, src1=
   v_cmpx_lg_u64 \dst, \src0, \src1 
.endm

.macro _v_cmpx_ge_i16 dst, src0, src1=
   v_cmpx_ge_i16 \dst, \src0, \src1 
.endm

.macro _v_cmpx_ge_i32 dst, src0, src1=
   v_cmpx_ge_i32 \dst, \src0, \src1 
.endm

.macro _v_cmpx_ge_i64 dst, src0, src1=
   v_cmpx_ge_i64 \dst, \src0, \src1 
.endm

.macro _v_cmpx_ge_u16 dst, src0, src1=
   v_cmpx_ge_u16 \dst, \src0, \src1 
.endm

.macro _v_cmpx_ge_u32 dst, src0, src1=
   v_cmpx_ge_u32 \dst, \src0, \src1 
.endm

.macro _v_cmpx_ge_u64 dst, src0, src1=
   v_cmpx_ge_u64 \dst, \src0, \src1 
.endm

.macro _v_cmpx_o_i16 dst, src0, src1=
   v_cmpx_o_i16 \dst, \src0, \src1 
.endm

.macro _v_cmpx_o_i32 dst, src0, src1=
   v_cmpx_o_i32 \dst, \src0, \src1 
.endm

.macro _v_cmpx_o_i64 dst, src0, src1=
   v_cmpx_o_i64 \dst, \src0, \src1 
.endm

.macro _v_cmpx_o_u16 dst, src0, src1=
   v_cmpx_o_u16 \dst, \src0, \src1 
.endm

.macro _v_cmpx_o_u32 dst, src0, src1=
   v_cmpx_o_u32 \dst, \src0, \src1 
.endm

.macro _v_cmpx_o_u64 dst, src0, src1=
   v_cmpx_o_u64 \dst, \src0, \src1 
.endm

.macro _v_cmpx_u_i16 dst, src0, src1=
   v_cmpx_u_i16 \dst, \src0, \src1 
.endm

.macro _v_cmpx_u_i32 dst, src0, src1=
   v_cmpx_u_i32 \dst, \src0, \src1 
.endm

.macro _v_cmpx_u_i64 dst, src0, src1=
   v_cmpx_u_i64 \dst, \src0, \src1 
.endm

.macro _v_cmpx_u_u16 dst, src0, src1=
   v_cmpx_u_u16 \dst, \src0, \src1 
.endm

.macro _v_cmpx_u_u32 dst, src0, src1=
   v_cmpx_u_u32 \dst, \src0, \src1 
.endm

.macro _v_cmpx_u_u64 dst, src0, src1=
   v_cmpx_u_u64 \dst, \src0, \src1 
.endm
.macro _v_mac_f32 c:req, a:req, b:req
    v_fmac_f32 \c, \a, \b
.endmacro

/* scale global load macros */
.macro _s_load_b32 dst base offset
    s_load_dword \dst \base \offset
.endm

.macro _s_load_b64 dst base offset
    s_load_dwordx2 \dst \base \offset
.endm

.macro _s_load_b128 dst base offset
    s_load_dwordx4 \dst \base \offset
.endm

.macro _s_load_b256 dst base offset
    s_load_dwordx8 \dst \base \offset
.endm

.macro _s_load_b512 dst base offset
    s_load_dwordx16 \dst \base \offset
.endm


/* ds operation macros */
.macro _ds_load_u8 dst src offset
    ds_read_u8 \dst \src \offset
.endm

.macro _ds_load_u8_d16_hi dst src offset
    ds_read_u8_d16_hi \dst \src \offset
.endm

.macro _ds_load_u16 dst src offset
    ds_read_u16 \dst \src \offset
.endm

.macro _ds_load_u16_d16_hi dst src offset
    ds_read_u16_d16_hi \dst \src \offset
.endm

.macro _ds_load_b32 dst src offset
    ds_read_b32 \dst \src \offset
.endm

.macro _ds_load_b64 dst src offset
    ds_read_b64 \dst \src \offset
.endm

.macro _ds_load_b128 dst src offset
    ds_read_b128 \dst \src \offset
.endm

.macro _ds_store_b8 dst src offset
    ds_write_b8 \dst \src \offset
.endm

.macro _ds_store_b8_d16_hi dst src offset
    ds_write_b8_d16_hi \dst \src \offset
.endm

.macro _ds_store_b16 dst src offset
    ds_write_b16 \dst \src \offset
.endm

.macro _ds_store_b16_d16_hi dst src offset
    ds_write_b16_d16_hi \dst \src \offset
.endm

.macro _ds_store_b32 dst src offset
    ds_write_b32 \dst \src \offset
.endm

.macro _ds_store_b64 dst src offset
    ds_write_b64 \dst \src \offset
.endm

.macro _ds_store_b128 dst src offset
    ds_write_b128 \dst \src \offset
.endm

.macro _ds_load2_b32 dst src offset1 offset2
    ds_read2_b32 \dst \src \offset1 \offset2
.endm

.macro _ds_load2_b64 dst src offset1 offset2
    ds_read2_b64 \dst \src \offset1 \offset2
.endm

.macro _ds_store2_b32 dst src offset1 offset2
    ds_write2_b32 \dst \src \offset1 \offset2
.endm

.macro _ds_store2_b64 dst src offset1 offset2
    ds_write2_b64 \dst \src \offset1 \offset2
.endm


/* buffer memory operation macros */
.macro _buffer_load_b32 dst voffset base soffset offen ioffset md0 md1 md2
    buffer_load_dword \dst \voffset \base \soffset \offen \ioffset \md0 \md1 \md2
.endm

.macro _buffer_load_b64 dst voffset base soffset offen ioffset md0 md1 md2
    buffer_load_dwordx2 \dst \voffset \base \soffset \offen \ioffset \md0 \md1 \md2
.endm

.macro _buffer_load_b96 dst voffset base soffset offen ioffset md0 md1 md2
    buffer_load_dwordx3 \dst \voffset \base \soffset \offen \ioffset \md0 \md1 \md2
.endm

.macro _buffer_load_b128 dst voffset base soffset offen ioffset md0 md1 md2
    buffer_load_dwordx4 \dst \voffset \base \soffset \offen \ioffset \md0 \md1 \md2
.endm

.macro _buffer_load_d16_b16 dst voffset base soffset offen ioffset md0 md1 md2
    buffer_load_short_d16 \dst \voffset \base \soffset \offen \ioffset \md0 \md1 \md2
.endm

.macro _buffer_load_d16_hi_b16 dst voffset base soffset offen ioffset md0 md1 md2
    buffer_load_short_d16_hi \dst \voffset \base \soffset \offen \ioffset \md0 \md1 \md2
.endm

.macro _buffer_load_d16_u8 dst voffset base soffset offen ioffset md0 md1 md2
    buffer_load_ubyte_d16 \dst \voffset \base \soffset \offen \ioffset \md0 \md1 \md2
.endm

.macro _buffer_load_d16_hi_u8 dst voffset base soffset offen ioffset md0 md1 md2
    buffer_load_ubyte_d16_hi \dst \voffset \base \soffset \offen \ioffset \md0 \md1 \md2
.endm

.macro _buffer_load_u16 dst voffset base soffset offen ioffset md0 md1 md2
    buffer_load_ushort \dst \voffset \base \soffset \offen \ioffset \md0 \md1 \md2
.endm

.macro _buffer_load_b32_dtl voffset base soffset offen ioffset md0 md1 md2
    buffer_load_dword \voffset \base \soffset \offen \ioffset \md0 \md1 \md2
.endm

.macro _buffer_load_b64_dtl voffset base soffset offen ioffset md0 md1 md2
    buffer_load_dwordx2 \voffset \base \soffset \offen \ioffset \md0 \md1 \md2
.endm

.macro _buffer_load_b128_dtl voffset base soffset offen ioffset md0 md1 md2
    buffer_load_dwordx4 \voffset \base \soffset \offen \ioffset \md0 \md1 \md2
.endm

.macro _buffer_load_u16_dtl voffset base soffset offen ioffset md0 md1 md2
    buffer_load_ushort \voffset \base \soffset \offen \ioffset \md0 \md1 \md2
.endm

.macro _buffer_store_b32 src voffset base soffset offen ioffset md0 md1 md2
    buffer_store_dword \src \voffset \base \soffset \offen \ioffset \md0 \md1 \md2
.endm

.macro _buffer_store_b64 src voffset base soffset offen ioffset md0 md1 md2
    buffer_store_dwordx2 \src \voffset \base \soffset \offen \ioffset \md0 \md1 \md2
.endm

.macro _buffer_store_b96 src voffset base soffset offen ioffset md0 md1 md2
    buffer_store_dwordx3 \src \voffset \base \soffset \offen \ioffset \md0 \md1 \md2
.endm

.macro _buffer_store_b128 src voffset base soffset offen ioffset md0 md1 md2
    buffer_store_dwordx4 \src \voffset \base \soffset \offen \ioffset \md0 \md1 \md2
.endm

.macro _buffer_store_b16 src voffset base soffset offen ioffset md0 md1 md2
    buffer_store_short \src \voffset \base \soffset \offen \ioffset \md0 \md1 \md2
.endm

.macro _buffer_store_d16_hi_b16 src voffset base soffset offen ioffset md0 md1 md2
    buffer_store_short_d16_hi \src \voffset \base \soffset \offen \ioffset \md0 \md1 \md2
.endm

.macro _buffer_store_b8 src voffset base soffset offen ioffset md0 md1 md2
    buffer_store_byte \src \voffset \base \soffset \offen \ioffset \md0 \md1 \md2
.endm

.macro _buffer_store_d16_hi_b8 src voffset base soffset offen ioffset md0 md1 md2
    buffer_store_byte_d16_hi \src \voffset \base \soffset \offen \ioffset \md0 \md1 \md2
.endm

.macro _buffer_atomic_cmpswap_b32 dst voffset base soffset offen ioffset md0 md1 md2
    buffer_atomic_cmpswap \dst \voffset \base \soffset \offen \ioffset \md0 \md1 \md2
.endm

.macro _buffer_atomic_cmpswap_b64 dst voffset base soffset offen ioffset md0 md1 md2
    buffer_atomic_cmpswap_x2 \dst \voffset \base \soffset \offen \ioffset \md0 \md1 \md2
.endm


/* buffer memory operation macros */
.macro _global_load_b32 dst base src ioffset md0 md1 md2
    global_load_dword \dst \base \src \ioffset \md0 \md1 \md2
.endm

.macro _global_load_b64 dst base src ioffset md0 md1 md2
    global_load_dwordx2 \dst \base \src \ioffset \md0 \md1 \md2
.endm

.macro _global_load_b96 dst base src ioffset md0 md1 md2
    global_load_dwordx3 \dst \base \src \ioffset \md0 \md1 \md2
.endm

.macro _global_load_b128 dst base src ioffset md0 md1 md2
    global_load_dwordx4 \dst \base \src \ioffset \md0 \md1 \md2
.endm

.macro _global_load_d16_b16 dst base src ioffset md0 md1 md2
    global_load_short_d16 \dst \base \src \ioffset \md0 \md1 \md2
.endm

.macro _global_load_d16_hi_b16 dst base src ioffset md0 md1 md2
    global_load_short_d16_hi \dst \base \src \ioffset \md0 \md1 \md2
.endm

.macro _global_load_d16_u8 dst base src ioffset md0 md1 md2
    global_load_ubyte_d16 \dst \base \src \ioffset \md0 \md1 \md2
.endm

.macro _global_load_d16_hi_u8 dst base src ioffset md0 md1 md2
    global_load_ubyte_d16_hi \dst \base \src \ioffset \md0 \md1 \md2
.endm

.macro _global_load_u16 dst base src ioffset md0 md1 md2
    global_load_ushort \dst \base \src \ioffset \md0 \md1 \md2
.endm

.macro _global_store_b32 base src src2 md0 md1 md2
    global_store_dword \base \src \src2 \md0 \md1 \md2
.endm

.macro _global_store_b64 base src src2 md0 md1 md2
    global_store_dwordx2 \base \src \src2 \md0 \md1 \md2
.endm

.macro _global_store_b96 base src src2 md0 md1 md2
    global_store_dwordx3 \base \src \src2 \md0 \md1 \md2
.endm

.macro _global_store_b128 base src src2 md0 md1 md2
    global_store_dwordx4 \base \src \src2 \md0 \md1 \md2
.endm

.macro _global_store_d16_b16 base src src2 md0 md1 md2
    global_store_short \base \src \src2 \md0 \md1 \md2
.endm

.macro _global_store_d16_hi_b16 base src src2 md0 md1 md2
    global_store_short_d16_hi \base \src \src2 \md0 \md1 \md2
.endm

.macro _global_store_d16_u8 base src src2 md0 md1 md2
    global_store_ubyte_d16 \base \src \src2 \md0 \md1 \md2
.endm

.macro _global_store_d16_hi_u8 base src src2 md0 md1 md2
    global_store_ubyte_d16_hi \base \src \src2 \md0 \md1 \md2
.endm

.macro _global_store_u16 base src src2 md0 md1 md2
    global_store_ushort \base \src \src2 \md0 \md1 \md2
.endm

.macro _global_atomic_cmpswap_b32 tmp base data src ioffset md
    global_atomic_cmpswap \tmp \base \data \src \ioffset \md
.endm

.macro _global_atomic_cmpswap_b64 tmp base data src ioffset md
    global_atomic_cmpswap_x2 \tmp \base \data \src \ioffset \md
.endm


/******************************************/
/* Magic div and mod functions            */
/******************************************/
.macro V_MAGIC_DIV dstIdx:req, dividend:req, magicNumber:req, magicShift:req, magicA:req
    v_mul_hi_u32 v[\dstIdx+1], \dividend, \magicNumber
    v_mul_lo_u32 v[\dstIdx+0], \dividend, \magicA
    _v_add_u32 v[\dstIdx+0], v[\dstIdx+0], v[\dstIdx+1]
    v_lshrrev_b32 v[\dstIdx+0], \magicShift, v[\dstIdx+0]
.endm

/******************************************/
/* VGPR Assignments                       */
/******************************************/
/* ValuC range: [0-0), serializedStore enabled */
.set vgprValuC, 0
/* ValuA/B   Xn=PLR buffer idx,  In=InnerUnroll idx */
.set vgprValuA_X0_I0, 0
.set vgprValuA_X1_I0, 64
.set vgprG2LA, 140
.set vgprValuB_X0_I0, 128
.set vgprValuB_X1_I0, 132
.set vgprG2LB, 204
.set vgprLocalWriteAddrA, 136
.set vgprLocalWriteAddrB, 137
.set vgprGlobalReadOffsetA, 138
.set vgprGlobalReadOffsetB, 139
.set vgprLocalReadAddrA, 208
.set vgprLocalReadAddrB, 209
.set vgprSerial, 210
/* Num VGPR=256 */
/* Num AccVGPR=64 */

/******************************************/
/* SGPR Assignments                       */
/******************************************/
.set sgprKernArgAddress, 0 // (2)
.set sgprWorkGroup0, 2 // (1)
.set sgprWorkGroup1, 3 // (1)
.set sgprWorkGroup2, 4 // (1)
.set sgprLoopCounterL, 5 // (1)
.set sgprOrigLoopCounter, 6 // (1)
.set sgprSrdA, 8 // (4)
.set sgprSrdB, 12 // (4)
.set sgprSrdD, 16 // (4)
.set sgprSrdC, 20 // (4)
.set sgprTensor2dSizeA, 24 // (2)
.set sgprTensor2dSizeB, 26 // (2)
.set sgprAddressD, 28 // (2)
.set sgprAddressC, 30 // (2)
.set sgprAddressA, 32 // (2)
.set sgprAddressB, 34 // (2)
.set sgprAlpha, 36 // (4)
.set sgprBeta, 40 // (4)
.set sgprStridesD, 44 // (2)
.set sgprStridesC, 46 // (2)
.set sgprStridesA, 48 // (2)
.set sgprStridesB, 50 // (2)
.set sgprSizesFree, 52 // (3)
.set sgprSizesSum, 55 // (1)
.set sgprNumWorkGroups0, 56 // (1)
.set sgprNumWorkGroups1, 57 // (1)
.set sgprNumFullBlocks, 58 // (1)
.set sgprWgmRemainder1, 59 // (1)
.set sgprMagicNumberWgmRemainder1, 60 // (1)
.set sgprShadowLimitA, 0 // (2)
.set sgprShadowLimitB, 28 // (2)
.set sgprGlobalReadIncsA, 7 // (1)
.set sgprGlobalReadIncsB, 30 // (1)
.set sgprScalarGlobalReadOffsetA, 64 // (15)
/* max SGPR=79 */

/* Size Assignments */
.set sgprSizeI, sgprSizesFree+0
.set sgprSizeJ, sgprSizesFree+1
.set sgprSizeK, sgprSizesFree+2
.set sgprSizeL, sgprSizesSum+0

/* Stride Assignments */
.set constStrideD0I, 1
.set sgprStrideD1J, sgprStridesD+0
.set sgprStrideDK, sgprStridesD+1
.set constStrideC0I, 1
.set sgprStrideC1J, sgprStridesC+0
.set sgprStrideCK, sgprStridesC+1
.set constStrideA0I, 1
.set sgprStrideAL, sgprStridesA+0
.set sgprStrideAK, sgprStridesA+1
.set constStrideBL, 1
.set sgprStrideB1J, sgprStridesB+0
.set sgprStrideBK, sgprStridesB+1

.set MT0, 128
.set MT1, 8
.set DepthU, 8
.set GSU, 1
.set BpeA, 16
.set BpeALog2, 4
.set BpeB, 16
.set BpeBLog2, 4
/* Number of elements to shift-left SRD */
.set SrdShiftLeftA, 1
.set SrdShiftLeftB, 1
/* 2GB limit - set offsets to -1 to exceed this and clamp */
.set BufferLimitA, 0xffffffff
.set BufferLimitB, 0xffffffff
.set BufferOOB, 0xfffff000

/******************************************/
/* Bits 127:96 of SRD.                    */
/* hex: 0x00020000                        */
/* dst_sel_x (3b): 0                      */
/* dst_sel_y (3b): 0                      */
/* dst_sel_z (3b): 0                      */
/* dst_sel_w (3b): 0                      */
/* num_format (3b): 0                     */
/* data_format (4b): 4                    */
/* user_vm_enable (1b): 0                 */
/* user_vm_mode (1b): 0                   */
/* index_stride (2b): 0                   */
/* add_tid_enable (1b): 0                 */
/* _unusedA (3b): 0                       */
/* nv (1b): 0                             */
/* _unusedB (2b): 0                       */
/* type (2b): 0                           */
/******************************************/
.set Srd127_96, 0x00020000

/* Global Offset A */
.macro GLOBAL_OFFSET_A vgprAddr:req vgprOffset0I:req vgprOffsetL:req vgprTmp:req
v_mul_lo_u32 v[\vgprTmp+0], s[sgprStrideAL], v[\vgprOffsetL] // mul d1 lower
_v_add_co_u32 v[\vgprAddr+0], vcc, v[\vgprOffset0I], v[\vgprTmp+0] // accumulate K lower
_v_add_u32 v[\vgprAddr+0], 0x1, v[\vgprAddr+0]     // add prepad for pointer shift
v_lshlrev_b32 v[\vgprAddr+0], 0x4, v[\vgprAddr+0]  // offset *= bytes/element
.endm

/* Global Offset B */
.macro GLOBAL_OFFSET_B vgprAddr:req vgprOffsetL:req vgprOffset1J:req vgprTmp:req
v_mul_lo_u32 v[\vgprTmp+0], s[sgprStrideB1J], v[\vgprOffset1J] // mul d1 lower
_v_add_co_u32 v[\vgprAddr+0], vcc, v[\vgprOffsetL], v[\vgprTmp+0] // accumulate K lower
_v_add_u32 v[\vgprAddr+0], 0x1, v[\vgprAddr+0]     // add prepad for pointer shift
v_lshlrev_b32 v[\vgprAddr+0], 0x4, v[\vgprAddr+0]  // offset *= bytes/element
.endm

/******************************************/
/* Dynamic Scalar Divide: vQuotient=vDividend/vDivisor; vRemainder=vDividend%vDivisor; */
/******************************************/
.macro DYNAMIC_VECTOR_DIVIDE vQuotient vRemainder vDividend vDivisor vTmp0 vTmp1 sTmp
v_cvt_f32_u32 v[\vQuotient], v[\vDivisor]          // 
v_rcp_f32 v[\vQuotient], v[\vQuotient]             // 
v_mul_f32 v[\vQuotient], 0x4f800000, v[\vQuotient] // 
v_cvt_u32_f32 v[\vQuotient], v[\vQuotient]         // 
v_mul_lo_u32 v[\vRemainder], v[\vDivisor], v[\vQuotient] // 
v_mul_hi_u32 v[\vTmp0], v[\vDivisor], v[\vQuotient] // 
_v_sub_co_u32 v[\vTmp1], vcc, 0x0, v[\vRemainder]  // 
v_cmp_ne_i32 s[\sTmp:\sTmp+1], 0x0, v[\vTmp0]      // 
v_cndmask_b32 v[\vRemainder], v[\vTmp1], v[\vRemainder], s[\sTmp:\sTmp+1] // 
v_mul_hi_u32 v[\vRemainder], v[\vRemainder], v[\vQuotient] // 
_v_sub_co_u32 v[\vTmp0], vcc, v[\vQuotient], v[\vRemainder] // 
_v_add_co_u32 v[\vQuotient], vcc, v[\vQuotient], v[\vRemainder] // 
v_cndmask_b32 v[\vQuotient], v[\vQuotient], v[\vTmp0], s[\sTmp:\sTmp+1] // 
v_mul_hi_u32 v[\vQuotient], v[\vQuotient], v[\vDividend] // 
v_mul_lo_u32 v[\vRemainder], v[\vQuotient], v[\vDivisor] // 
_v_sub_co_u32 v[\vTmp0], vcc, v[\vDividend], v[\vRemainder] // 
v_cmp_ge_u32 s[\sTmp:\sTmp+1], v[\vDividend], v[\vRemainder] // 
_v_add_co_u32 v[\vRemainder], vcc, 0x1, v[\vQuotient] // 
_v_add_co_u32 v[\vTmp1], vcc, -1, v[\vQuotient]    // 
v_cmp_le_u32 vcc, v[\vDivisor], v[\vTmp0]          // 
s_and_b64 vcc, s[\sTmp:\sTmp+1], vcc               // 
v_cndmask_b32 v[\vQuotient], v[\vQuotient], v[\vRemainder], vcc // 
v_cndmask_b32 v[\vQuotient], v[\vTmp1], v[\vQuotient], s[\sTmp:\sTmp+1] // 
v_cmp_ne_i32 vcc, 0x0, v[\vDivisor]                // 
v_cndmask_b32 v[\vQuotient], -1, v[\vQuotient], vcc // final result
v_mul_lo_u32 v[\vRemainder], v[\vQuotient], v[\vDivisor] // 
_v_sub_co_u32 v[\vRemainder], vcc, v[\vDividend], v[\vRemainder] // final result
.endm


	;; [unrolled: 1-line block ×3, first 2 shown]
/******************************************/
/* Allocate Resources                     */
/******************************************/

Cijk_Ailk_Bljk_ZB_MT128x8x8_MI4x4x4x4_SN_1LDSB1_APM1_ABV0_ACED0_AF0EM1_AF1EM1_AMAS0_ASE_ASGT_ASLT19_ASEM1_AAC0_BL1_BS1_CLR0_DTVA0_DVO0_ETSP_EPS1_EMLL0_FL1_GLVWA1_GLVWB1_GRPM1_GRVW1_GSU1_GSUASB_GLS0_ISA90a_IU1_K1_KLA_LBSPPA0_LBSPPB128_LPA0_LPB1_LDL1_LRVW1_LWPMn1_LDW0_FMA_MIAV0_MO40_MMFGLC_NTA0_NTB0_NTC0_NTD0_NEPBS4_NLCA2_NLCB1_ONLL1_OPLV0_PK0_PAP0_PGR2_PLR3_SIA3_SS1_SU0_SUM0_SUS0_SCIUI1_SPO0_SRVW0_SSO0_SVW1_SNLL0_TSGRA0_TSGRB0_TT16_4_TLDS1_UMLDSA0_UMLDSB1_USFGROn1_VAW1_VSn1_VW1_VWB1_VFLRP0_WSGRA0_WSGRB0_WG8_8_1_WGM8_preloaded: // Kernel start when preloading

/* Load Kernel Args */
_s_load_b512 s[24:39], s[sgprKernArgAddress:sgprKernArgAddress+1], 0x0 // 
_s_load_b512 s[40:55], s[sgprKernArgAddress:sgprKernArgAddress+1], 0x40 // 
_s_load_b128 s[56:59], s[sgprKernArgAddress:sgprKernArgAddress+1], 0x80 // 
_s_load_b32 s60, s[sgprKernArgAddress:sgprKernArgAddress+1], 0x90 // 
s_mov_b32 m0, 0x4480                               // LDS clamp at 17536 bytes
v_mov_b32 v[vgprSerial], v0                        // thread serial id

/******************************************/
/* Local Read Addresses                   */
/******************************************/


/* local read addresses: tile assignments a/b */

/*lr0I*/
v_and_b32 v1, 63, v[vgprSerial]                    // 0. thread id in wave: wtid = tid % wavelength(64)
v_and_b32 v0, 3, v1                                // 1. N offset: nIdx = wtid % MI_N(4)
                                                   // 1. N offset: nOffset = nIdx * nStride(1) (multiplier is 1, do nothing)
v_lshrrev_b32 v2, 2, v1                            // 2. block offset: bnIdx = wtid / dividedForBlkId(4)
v_and_b32 v2, 1, v2                                // 2. block offset: bnIdx = bnIdx % num1DBlocks(2)
v_lshlrev_b32 v2, 0x2, v2                          // 2. block offset: bnOffset = bnIdx * strideBlock(4)
_v_add_u32 v0, v2, v0                              // 3. add N and block offset: bnOffset = block and N offset
                                                   // 4. apply VectorWidth: bnOffset = bnOffset * vw(1) (multiplier is 1, do nothing)
v_lshrrev_b32 v1, 4, v1                            // 5. K offset: kIdx = wtid / (MIN(4) * MIBB(4))
v_lshlrev_b32 v1, 0x7, v1                          // 5. K offset: lrKOffset = kIdx * mStride(128)
_v_add_u32 v0, v1, v0                              // 6. offset in wave: lrOffset = bnOffset + lrKOffset
/*lr1J*/
v_and_b32 v2, 63, v[vgprSerial]                    // 0. thread id in wave: wtid = tid % wavelength(64)
v_and_b32 v1, 3, v2                                // 1. N offset: nIdx = wtid % MI_N(4)
v_lshlrev_b32 v1, 0x3, v1                          // 1. N offset: nOffset = nIdx * nStride(8)
v_lshrrev_b32 v3, 3, v2                            // 2. block offset: bnIdx = wtid / dividedForBlkId(8)
v_and_b32 v3, 1, v3                                // 2. block offset: bnIdx = bnIdx % num1DBlocks(2)
v_lshlrev_b32 v3, 0x5, v3                          // 2. block offset: bnOffset = bnIdx * strideBlock(32)
_v_add_u32 v1, v3, v1                              // 3. add N and block offset: bnOffset = block and N offset
                                                   // 4. apply VectorWidth: bnOffset = bnOffset * vw(1) (multiplier is 1, do nothing)
v_lshrrev_b32 v2, 4, v2                            // 5. K offset: kIdx = wtid / (MIN(4) * MIBB(4))
                                                   // 5. K offset: lrKOffset = kIdx * mStride(1) (multiplier is 1, do nothing)
_v_add_u32 v1, v2, v1                              // 6. offset in wave: lrOffset = bnOffset + lrKOffset


/* local read addresses: final offsets a */

v_lshlrev_b32 v[vgprLocalReadAddrA], 0x4, v0       // Final Offset: offset = (lro0)*bpe


/* local read addresses: final offsets b */

v_lshlrev_b32 v[vgprLocalReadAddrB], 0x4, v1       // Final Offset: offset = (lro1)*bpe
v_lshrrev_b32 v0, 7, v[vgprLocalReadAddrB]         // Final Offset: padding 1 per block 128
v_lshlrev_b32 v0, 0x4, v0                          // Final Offset: padding 1 per block 128
_v_add_u32 v[vgprLocalReadAddrB], v0, v[vgprLocalReadAddrB] // Final Offset: add padding 1 per block 128


/* local read addresses: declare addresses a */

/* N/A */


/* local read addresses: declare addresses b */

_v_add_co_u32 v[vgprLocalReadAddrB+0], vcc, 0x4000, v[vgprLocalReadAddrB+0] //  += LdsOffsetB (lower)


/* global read addresses: tile offset assignment a */

/* LVCA = 64 */
/* v0 = (local)groA-tile = serial%LVCA (note (wgA*MTA) will be added to SRD) */
/* v1 = groA-unroll = serial/LVCA */
v_lshrrev_b32 v1, 6, v[vgprSerial]                 // v1 = v[vgprSerial] / 64
v_and_b32 v0, 63, v[vgprSerial]                    // v0 = v[vgprSerial] % 64
/* gro-tile *= glvw */
                                                   // v0 = v0 * 1 (multiplier is 1, do nothing)


/* global read addresses: tile offset assignment b */

/* LVCB = 8 */
/* v2 = (local)groB-tile = serial/LVCB (note (wgB*MTB) will be added to SRD) */
/* v3 = groB-unroll = serial%LVCB */
v_lshrrev_b32 v2, 3, v[vgprSerial]                 // v2 = v[vgprSerial] / 8
v_and_b32 v3, 7, v[vgprSerial]                     // v3 = v[vgprSerial] % 8
/* gro-unroll *= glvw */
                                                   // v3 = v3 * 1 (multiplier is 1, do nothing)


/******************************************/
/* Local Write Addresses                  */
/******************************************/

/* lwaTileAssignmentA = v0 */

/* lwaTileAssignmentB = v2 */

/* lwaUnrollAssignmentA = v1 */

/* lwaUnrollAssignmentB = v3 */


/* local write addresses: first offset a */

v_mul_u32_u24 v[vgprLocalWriteAddrA], 0x80, v1     // lwAL**(MTA + PAD)
_v_add_lshl_u32 v[vgprLocalWriteAddrA], v0, v[vgprLocalWriteAddrA], 0x4 // lwFOA = (lwAA + lwAL*(MT0I+PAD))*bpe


/* local write addresses: first offset b */

v_mul_u32_u24 v[vgprLocalWriteAddrB], 0x8, v2      // lwBL**(DepthU_Compute + PAD)
_v_add_lshl_u32 v[vgprLocalWriteAddrB], v3, v[vgprLocalWriteAddrB], 0x4 // lwFOB = (lwBB + lwBL*(DepthU+PAD))*bpe
v_lshrrev_b32 v4, 7, v[vgprLocalWriteAddrB]        // padding 1 per block 128
v_lshlrev_b32 v4, 0x4, v4                          // padding 1 per block 128
_v_add_u32 v[vgprLocalWriteAddrB], v4, v[vgprLocalWriteAddrB] // add padding 1 per block 128
_v_add_co_u32 v[vgprLocalWriteAddrB], vcc, 0x4000, v[vgprLocalWriteAddrB] // lwFOB = lwB1J + lwBL*MT1J + LDS_OFFSET_B=1024*16


	;; [unrolled: 1-line block ×7, first 2 shown]
s_waitcnt lgkmcnt(0)                               // wait for 148 bytes of kern args
s_mov_b64 s[sgprSrdC+0:sgprSrdC+0+1], s[sgprAddressC+0:sgprAddressC+0+1] // copy addressC
s_mov_b64 s[sgprSrdD+0:sgprSrdD+0+1], s[sgprAddressD+0:sgprAddressD+0+1] // copy addressD
s_sub_u32 s[sgprSrdA+0], s[sgprAddressA+0], 16     // pre-pad to make room for possible pointer shift
s_subb_u32 s[sgprSrdA+1], s[sgprAddressA+1], 0     // pre-pad to make room for possible pointer shift
s_sub_u32 s[sgprSrdB+0], s[sgprAddressB+0], 16     // pre-pad to make room for possible pointer shift
s_subb_u32 s[sgprSrdB+1], s[sgprAddressB+1], 0     // pre-pad to make room for possible pointer shift

.set AddressD, UNDEF
.set AddressC, UNDEF
.set AddressA, UNDEF
.set AddressB, UNDEF

/* Short circuit condition if Alpha == 0, then sumDims=0 */
v_cmp_eq_f64 vcc, s[sgprAlpha:sgprAlpha+1], 0.0    // Alpha.real == 0.0 ?
s_cbranch_vccz label_AlphaNonZero                  // branch if Alpha.real != 0
v_cmp_eq_f64 vcc, s[sgprAlpha+2:sgprAlpha+2+1], 0.0 // Alpha.imag == 0.0 ?
s_cbranch_vccz label_AlphaNonZero                  // branch if Alpha.imag != 0
s_mov_b32 s[sgprSizesSum+0], 0x0                   // Set summation dim=0 if Alpha == 0
label_AlphaNonZero:


	;; [unrolled: 1-line block ×3, first 2 shown]
/******************************************/
/* Begin setupNewTile, isPap=False           */
/******************************************/


/* global read addresses: work-group */

/* graWorkGroup mapping */
s_mov_b32 s35, 0x10000001L                         // magic number for WGM==8
s_mul_hi_u32 s33, s[sgprWorkGroup1], s35           // s_magic mul
s_mul_i32 s32, s[sgprWorkGroup1], s35              // s_magic mul
s_lshr_b64 s[32:33], s[32:33], 31                  // sMagicDiv
s_mul_i32 s33, s32, 8                              // quotient * non-magic divisor
s_sub_u32 s33, s[sgprWorkGroup1], s33              // WorkGroup1=remainder
s_mul_i32 s33, s33, s[sgprNumWorkGroups0]          // (wg1 % WGM)*nwg0
s_add_u32 s33, s33, s[sgprWorkGroup0]              // wgSerial = wg0 + (wg1 % WGM)*nwg1
s_cmp_ge_u32 s32, s[sgprNumFullBlocks]             // blockId >= numFullBlocks ?
s_cmov_b32 s35, s[sgprMagicNumberWgmRemainder1]    // 
s_cselect_b32 s34, s[sgprWgmRemainder1], 8         // 
s_mul_hi_u32 s3, s33, s35                          // s_magic mul
s_mul_i32 s2, s33, s35                             // s_magic mul
s_lshr_b64 s[2:3], s[2:3], 31                      // sMagicDiv
s_mul_i32 s[sgprWorkGroup1], s[sgprWorkGroup0], s34 // quotient * non-magic divisor
s_sub_u32 s[sgprWorkGroup1], s33, s[sgprWorkGroup1] // WorkGroup1=remainder
s_mul_i32 s32, s32, 8                              // blockId * WGM
s_add_u32 s[sgprWorkGroup1], s[sgprWorkGroup1], s32 // wg1 += blockId * WGM


/* global read addresses: unroll assignment a */

/* v1 */


/* global read addresses: unroll assignment b */

/* v3 */


/* global read addresses: other free assignments */

/* s[sgprWorkGroup2] */


/* global read addresses: tile offsets a */


	;; [unrolled: 1-line block ×3, first 2 shown]
/* global read addresses: tile offsets b */


	;; [unrolled: 1-line block ×3, first 2 shown]
/* global read addresses: unroll offsets a */


	;; [unrolled: 1-line block ×3, first 2 shown]
/* global read addresses: unroll offsets b */



/* global read addresses: final offsets a */

GLOBAL_OFFSET_A vgprGlobalReadOffsetA+0,  0,  1, 4 // gROA_0_0_0_0
s_mul_i32 s[sgprScalarGlobalReadOffsetA+0], s[sgprStrideAL], 0 // compute offset diff (scaled unrollDim)
s_add_u32 s[sgprScalarGlobalReadOffsetA+0], s[sgprScalarGlobalReadOffsetA+0], 64 // compute offset diff (tileDim)
s_lshl_b32 s[sgprScalarGlobalReadOffsetA+0], s[sgprScalarGlobalReadOffsetA+0], 0x4 // scalar offset *= bytes/element
s_mul_i32 s[sgprScalarGlobalReadOffsetA+1], s[sgprStrideAL], 1 // compute offset diff (scaled unrollDim)
s_lshl_b32 s[sgprScalarGlobalReadOffsetA+1], s[sgprScalarGlobalReadOffsetA+1], 0x4 // scalar offset *= bytes/element
s_mul_i32 s[sgprScalarGlobalReadOffsetA+2], s[sgprStrideAL], 1 // compute offset diff (scaled unrollDim)
s_add_u32 s[sgprScalarGlobalReadOffsetA+2], s[sgprScalarGlobalReadOffsetA+2], 64 // compute offset diff (tileDim)
s_lshl_b32 s[sgprScalarGlobalReadOffsetA+2], s[sgprScalarGlobalReadOffsetA+2], 0x4 // scalar offset *= bytes/element
s_mul_i32 s[sgprScalarGlobalReadOffsetA+3], s[sgprStrideAL], 2 // compute offset diff (scaled unrollDim)
s_lshl_b32 s[sgprScalarGlobalReadOffsetA+3], s[sgprScalarGlobalReadOffsetA+3], 0x4 // scalar offset *= bytes/element
	;; [unrolled: 5-line block ×7, first 2 shown]
s_mul_i32 s[sgprScalarGlobalReadOffsetA+14], s[sgprStrideAL], 7 // compute offset diff (scaled unrollDim)
s_add_u32 s[sgprScalarGlobalReadOffsetA+14], s[sgprScalarGlobalReadOffsetA+14], 64 // compute offset diff (tileDim)
s_lshl_b32 s[sgprScalarGlobalReadOffsetA+14], s[sgprScalarGlobalReadOffsetA+14], 0x4 // scalar offset *= bytes/element


/* global read addresses: final offsets b */

GLOBAL_OFFSET_B vgprGlobalReadOffsetB+0,  3,  2, 4 // gROB_0_0_0_0


/* global read addresses: addresses a */

/* max read offset = size[n] * stride[n-1] */
s_mul_hi_u32 s35, s[sgprWorkGroup0], 128           // WorkGroup[01] * MT
s_mul_i32 s34, s[sgprWorkGroup0], 128              // WorkGroup[01] * MT
s_sub_u32 s[sgprShadowLimitA+0], s[sgprTensor2dSizeA], s34 // sub tileStart
s_subb_u32 s[sgprShadowLimitA+1], s[sgprTensor2dSizeA+1], s35 // sub tileStart
s_lshl_b64 s[sgprShadowLimitA:sgprShadowLimitA+1], s[sgprShadowLimitA:sgprShadowLimitA+1], 0x4 // Set limit to use bytes
s_add_u32 s[sgprShadowLimitA+0], s[sgprShadowLimitA+0], 16 // extend limit for pre-pad
s_addc_u32 s[sgprShadowLimitA+1], s[sgprShadowLimitA+1], 0 // extend limit for pre-pad
s_cmp_eq_u32 s[sgprShadowLimitA+1], 0              // are we within 2^32?
s_cselect_b32 s[sgprSrdA+2], s[sgprShadowLimitA+0], BufferLimitA // Move shadow to real if we are within 2^32
s_mul_hi_u32 s33, s[sgprStrideAK], s[sgprWorkGroup2] // Stride*WG
s_mul_i32 s32, s[sgprStrideAK], s[sgprWorkGroup2]  // Stride*WG
s_add_u32 s34, s34, s32                            // accum wg term to tilestart
s_addc_u32 s35, s35, s33                           // accum wg term to tilestart
s_lshl_b64 s[34:35], s[34:35], 0x4                 // tileStart *= BPE
s_add_u32 s[sgprSrdA+0], s[sgprSrdA+0], s34        // SRD base = Address+ tileStart0
s_addc_u32 s[sgprSrdA+1], s[sgprSrdA+1], s35       // SRD base = Address+ tileStart1
s_mov_b32 s[sgprSrdA+3], Srd127_96                 // Set bits 127_96 in SRD


/* global read addresses: addresses b */

/* max read offset = size[n] * stride[n-1] */
s_mul_hi_u32 s35, s[sgprWorkGroup1], 8             // WorkGroup[01] * MT
s_mul_i32 s34, s[sgprWorkGroup1], 8                // WorkGroup[01] * MT
s_mul_hi_u32 s35, s34, s[sgprStrideB1J]            // tlu=0, scaled tile-offset by stride
s_mul_i32 s34, s34, s[sgprStrideB1J]               // tlu=0, scaled tile-offset by stride
s_sub_u32 s[sgprShadowLimitB+0], s[sgprTensor2dSizeB], s34 // sub tileStart
s_subb_u32 s[sgprShadowLimitB+1], s[sgprTensor2dSizeB+1], s35 // sub tileStart
s_lshl_b64 s[sgprShadowLimitB:sgprShadowLimitB+1], s[sgprShadowLimitB:sgprShadowLimitB+1], 0x4 // Set limit to use bytes
s_add_u32 s[sgprShadowLimitB+0], s[sgprShadowLimitB+0], 16 // extend limit for pre-pad
s_addc_u32 s[sgprShadowLimitB+1], s[sgprShadowLimitB+1], 0 // extend limit for pre-pad
s_cmp_eq_u32 s[sgprShadowLimitB+1], 0              // are we within 2^32?
s_cselect_b32 s[sgprSrdB+2], s[sgprShadowLimitB+0], BufferLimitB // Move shadow to real if we are within 2^32
s_mul_hi_u32 s33, s[sgprStrideBK], s[sgprWorkGroup2] // Stride*WG
s_mul_i32 s32, s[sgprStrideBK], s[sgprWorkGroup2]  // Stride*WG
s_add_u32 s34, s34, s32                            // accum wg term to tilestart
s_addc_u32 s35, s35, s33                           // accum wg term to tilestart
s_lshl_b64 s[34:35], s[34:35], 0x4                 // tileStart *= BPE
s_add_u32 s[sgprSrdB+0], s[sgprSrdB+0], s34        // SRD base = Address+ tileStart0
s_addc_u32 s[sgprSrdB+1], s[sgprSrdB+1], s35       // SRD base = Address+ tileStart1
s_mov_b32 s[sgprSrdB+3], Srd127_96                 // Set bits 127_96 in SRD


/* global read addresses: increments a */

s_mul_i32 s[sgprGlobalReadIncsA+0], DepthU*BpeA, s[sgprStrideAL] // incrA unrollIdx)


/* global read addresses: increments b */

s_mov_b32 s[sgprGlobalReadIncsB+0], DepthU*BpeB    // incrB (unrollIdx)

/* declare loop num iterations */


s_add_i32 s[sgprLoopCounterL], 7, s[sgprSizesSum+0] // round up SizeSum / DepthU
s_lshr_b32 s[sgprLoopCounterL], s[sgprLoopCounterL], 3 // s[sgprLoopCounterL] = s[sgprLoopCounterL] / 8
s_mov_b32 s[sgprOrigLoopCounter], s[sgprLoopCounterL] // copy loop counter

/* local read addresses: init pointers a */


/* localReadInitPointers */

/* local read addresses: init pointers b */


/* localReadInitPointers */


/* prefetch: global -> local */

s_cmp_eq_u32 s[sgprLoopCounterL], 0                // at last iteration?
s_cbranch_scc1 ShadowInitStart_10                  // skip to ShadowInitStart iter b/c numIter==0


_buffer_load_b128 v[vgprG2LA+0:vgprG2LA+0+3], v[vgprGlobalReadOffsetA+0], s[sgprSrdA:sgprSrdA+3], 0, offen offset:0 // G -> Reg 0_0_0_0
_buffer_load_b128 v[vgprG2LA+4:vgprG2LA+4+3], v[vgprGlobalReadOffsetA+0], s[sgprSrdA:sgprSrdA+3], s[sgprScalarGlobalReadOffsetA+0], offen offset:0 // G -> Reg 1_0_0_0
_buffer_load_b128 v[vgprG2LA+8:vgprG2LA+8+3], v[vgprGlobalReadOffsetA+0], s[sgprSrdA:sgprSrdA+3], s[sgprScalarGlobalReadOffsetA+1], offen offset:0 // G -> Reg 0_0_1_0
_buffer_load_b128 v[vgprG2LA+12:vgprG2LA+12+3], v[vgprGlobalReadOffsetA+0], s[sgprSrdA:sgprSrdA+3], s[sgprScalarGlobalReadOffsetA+2], offen offset:0 // G -> Reg 1_0_1_0
_buffer_load_b128 v[vgprG2LA+16:vgprG2LA+16+3], v[vgprGlobalReadOffsetA+0], s[sgprSrdA:sgprSrdA+3], s[sgprScalarGlobalReadOffsetA+3], offen offset:0 // G -> Reg 0_0_2_0
_buffer_load_b128 v[vgprG2LA+20:vgprG2LA+20+3], v[vgprGlobalReadOffsetA+0], s[sgprSrdA:sgprSrdA+3], s[sgprScalarGlobalReadOffsetA+4], offen offset:0 // G -> Reg 1_0_2_0
_buffer_load_b128 v[vgprG2LA+24:vgprG2LA+24+3], v[vgprGlobalReadOffsetA+0], s[sgprSrdA:sgprSrdA+3], s[sgprScalarGlobalReadOffsetA+5], offen offset:0 // G -> Reg 0_0_3_0
_buffer_load_b128 v[vgprG2LA+28:vgprG2LA+28+3], v[vgprGlobalReadOffsetA+0], s[sgprSrdA:sgprSrdA+3], s[sgprScalarGlobalReadOffsetA+6], offen offset:0 // G -> Reg 1_0_3_0
_buffer_load_b128 v[vgprG2LA+32:vgprG2LA+32+3], v[vgprGlobalReadOffsetA+0], s[sgprSrdA:sgprSrdA+3], s[sgprScalarGlobalReadOffsetA+7], offen offset:0 // G -> Reg 0_0_4_0
_buffer_load_b128 v[vgprG2LA+36:vgprG2LA+36+3], v[vgprGlobalReadOffsetA+0], s[sgprSrdA:sgprSrdA+3], s[sgprScalarGlobalReadOffsetA+8], offen offset:0 // G -> Reg 1_0_4_0
_buffer_load_b128 v[vgprG2LA+40:vgprG2LA+40+3], v[vgprGlobalReadOffsetA+0], s[sgprSrdA:sgprSrdA+3], s[sgprScalarGlobalReadOffsetA+9], offen offset:0 // G -> Reg 0_0_5_0
_buffer_load_b128 v[vgprG2LA+44:vgprG2LA+44+3], v[vgprGlobalReadOffsetA+0], s[sgprSrdA:sgprSrdA+3], s[sgprScalarGlobalReadOffsetA+10], offen offset:0 // G -> Reg 1_0_5_0
_buffer_load_b128 v[vgprG2LA+48:vgprG2LA+48+3], v[vgprGlobalReadOffsetA+0], s[sgprSrdA:sgprSrdA+3], s[sgprScalarGlobalReadOffsetA+11], offen offset:0 // G -> Reg 0_0_6_0
_buffer_load_b128 v[vgprG2LA+52:vgprG2LA+52+3], v[vgprGlobalReadOffsetA+0], s[sgprSrdA:sgprSrdA+3], s[sgprScalarGlobalReadOffsetA+12], offen offset:0 // G -> Reg 1_0_6_0
_buffer_load_b128 v[vgprG2LA+56:vgprG2LA+56+3], v[vgprGlobalReadOffsetA+0], s[sgprSrdA:sgprSrdA+3], s[sgprScalarGlobalReadOffsetA+13], offen offset:0 // G -> Reg 0_0_7_0
_buffer_load_b128 v[vgprG2LA+60:vgprG2LA+60+3], v[vgprGlobalReadOffsetA+0], s[sgprSrdA:sgprSrdA+3], s[sgprScalarGlobalReadOffsetA+14], offen offset:0 // G -> Reg 1_0_7_0


_buffer_load_b128 v[vgprG2LB+0:vgprG2LB+0+3], v[vgprGlobalReadOffsetB+0], s[sgprSrdB:sgprSrdB+3], 0, offen offset:0 // G -> Reg 0_0_0_0


/* global read inc A loopL */
s_add_u32 s[sgprSrdA+0], s[sgprSrdA+0], s[sgprGlobalReadIncsA+0] // gra SRD += inc(lower)
s_addc_u32  s[sgprSrdA+1], s[sgprSrdA+1], 0        // gra SRD += inc(upper)
s_sub_u32 s[sgprShadowLimitA+0], s[sgprShadowLimitA+0], s[sgprGlobalReadIncsA+0] // limit -= inc)
s_subb_u32 s[sgprShadowLimitA+1], s[sgprShadowLimitA+1], 0 // limit -= inc)
s_cmp_eq_u32 s[sgprShadowLimitA+1], 0              // are we within 2^32?
s_cmov_b32 s[sgprSrdA+2], s[sgprShadowLimitA+0]    // Move shadow to real if we are within 2^32

/* global read inc B loopL */
s_add_u32 s[sgprSrdB+0], s[sgprSrdB+0], s[sgprGlobalReadIncsB+0] // gra SRD += inc(lower)
s_addc_u32  s[sgprSrdB+1], s[sgprSrdB+1], 0        // gra SRD += inc(upper)
s_sub_u32 s[sgprShadowLimitB+0], s[sgprShadowLimitB+0], s[sgprGlobalReadIncsB+0] // limit -= inc)
s_subb_u32 s[sgprShadowLimitB+1], s[sgprShadowLimitB+1], 0 // limit -= inc)
s_cmp_eq_u32 s[sgprShadowLimitB+1], 0              // are we within 2^32?
s_cmov_b32 s[sgprSrdB+2], s[sgprShadowLimitB+0]    // Move shadow to real if we are within 2^32


/******************************************/
/* End setupNewTile, isPap=False             */
/******************************************/

ShadowInitStart_10: // 

s_mov_b32 s[sgprSrdD+2], BufferOOB                 // 
s_mov_b32 s[sgprSrdD+3], Srd127_96                 // Set bits 127_96 in post-loop SRD

s_mov_b32 s[sgprSrdC+2], BufferOOB                 // 
s_mov_b32 s[sgprSrdC+3], Srd127_96                 // Set bits 127_96 in post-loop SRD


s_mul_i32 s34, MT1, s[sgprWorkGroup1]              // <- wg1*MT1
s_mul_hi_u32 s33, s34, s[sgprStrideC1J]            // CScale s34 by Stride
s_mul_i32 s32, s34, s[sgprStrideC1J]               // CScale s34 by Stride
s_lshl_b64 s[32:33], s[32:33], 4                   // scale by bpe
s_add_u32 s[sgprSrdC+0], s[sgprSrdC+0], s32        // add lo to SRD
s_addc_u32 s[sgprSrdC+1], s[sgprSrdC+1], s33       // add hi to SRD
s_mul_hi_u32 s33, s34, s[sgprStrideD1J]            // Scale s34 by Stride
s_mul_i32 s32, s34, s[sgprStrideD1J]               // Scale s34 by Stride
s_lshl_b64 s[32:33], s[32:33], 4                   // scale by bpe
s_add_u32 s[sgprSrdD+0], s[sgprSrdD+0], s32        // add lo to SRD
s_addc_u32 s[sgprSrdD+1], s[sgprSrdD+1], s33       // add hi to SRD

s_mul_hi_u32 s33, s[sgprWorkGroup2], s[sgprStrideCK] // CScale s[sgprWorkGroup2] by Stride
s_mul_i32 s32, s[sgprWorkGroup2], s[sgprStrideCK]  // CScale s[sgprWorkGroup2] by Stride
s_lshl_b64 s[32:33], s[32:33], 4                   // scale by bpe
s_add_u32 s[sgprSrdC+0], s[sgprSrdC+0], s32        // add lo to SRD
s_addc_u32 s[sgprSrdC+1], s[sgprSrdC+1], s33       // add hi to SRD
s_mul_hi_u32 s33, s[sgprWorkGroup2], s[sgprStrideDK] // Scale s[sgprWorkGroup2] by Stride
s_mul_i32 s32, s[sgprWorkGroup2], s[sgprStrideDK]  // Scale s[sgprWorkGroup2] by Stride
s_lshl_b64 s[32:33], s[32:33], 4                   // scale by bpe
s_add_u32 s[sgprSrdD+0], s[sgprSrdD+0], s32        // add lo to SRD
s_addc_u32 s[sgprSrdD+1], s[sgprSrdD+1], s33       // add hi to SRD


	;; [unrolled: 1-line block ×3, first 2 shown]
/* initC: remove C-tile 0-0 from pool */

/* initC: remove AB-tile 0-136 from pool */
v_accvgpr_write acc0, 0x0                          // initC
v_accvgpr_write acc1, 0x0                          // initC
v_accvgpr_write acc2, 0x0                          // initC
v_accvgpr_write acc3, 0x0                          // initC
v_accvgpr_write acc4, 0x0                          // initC
v_accvgpr_write acc5, 0x0                          // initC
v_accvgpr_write acc6, 0x0                          // initC
v_accvgpr_write acc7, 0x0                          // initC
v_accvgpr_write acc8, 0x0                          // initC
v_accvgpr_write acc9, 0x0                          // initC
v_accvgpr_write acc10, 0x0                         // initC
v_accvgpr_write acc11, 0x0                         // initC
v_accvgpr_write acc12, 0x0                         // initC
v_accvgpr_write acc13, 0x0                         // initC
v_accvgpr_write acc14, 0x0                         // initC
v_accvgpr_write acc15, 0x0                         // initC
v_accvgpr_write acc16, 0x0                         // initC
v_accvgpr_write acc17, 0x0                         // initC
v_accvgpr_write acc18, 0x0                         // initC
v_accvgpr_write acc19, 0x0                         // initC
v_accvgpr_write acc20, 0x0                         // initC
v_accvgpr_write acc21, 0x0                         // initC
v_accvgpr_write acc22, 0x0                         // initC
v_accvgpr_write acc23, 0x0                         // initC
v_accvgpr_write acc24, 0x0                         // initC
v_accvgpr_write acc25, 0x0                         // initC
v_accvgpr_write acc26, 0x0                         // initC
v_accvgpr_write acc27, 0x0                         // initC
v_accvgpr_write acc28, 0x0                         // initC
v_accvgpr_write acc29, 0x0                         // initC
v_accvgpr_write acc30, 0x0                         // initC
v_accvgpr_write acc31, 0x0                         // initC
v_accvgpr_write acc32, 0x0                         // initC
v_accvgpr_write acc33, 0x0                         // initC
v_accvgpr_write acc34, 0x0                         // initC
v_accvgpr_write acc35, 0x0                         // initC
v_accvgpr_write acc36, 0x0                         // initC
v_accvgpr_write acc37, 0x0                         // initC
v_accvgpr_write acc38, 0x0                         // initC
v_accvgpr_write acc39, 0x0                         // initC
v_accvgpr_write acc40, 0x0                         // initC
v_accvgpr_write acc41, 0x0                         // initC
v_accvgpr_write acc42, 0x0                         // initC
v_accvgpr_write acc43, 0x0                         // initC
v_accvgpr_write acc44, 0x0                         // initC
v_accvgpr_write acc45, 0x0                         // initC
v_accvgpr_write acc46, 0x0                         // initC
v_accvgpr_write acc47, 0x0                         // initC
v_accvgpr_write acc48, 0x0                         // initC
v_accvgpr_write acc49, 0x0                         // initC
v_accvgpr_write acc50, 0x0                         // initC
v_accvgpr_write acc51, 0x0                         // initC
v_accvgpr_write acc52, 0x0                         // initC
v_accvgpr_write acc53, 0x0                         // initC
v_accvgpr_write acc54, 0x0                         // initC
v_accvgpr_write acc55, 0x0                         // initC
v_accvgpr_write acc56, 0x0                         // initC
v_accvgpr_write acc57, 0x0                         // initC
v_accvgpr_write acc58, 0x0                         // initC
v_accvgpr_write acc59, 0x0                         // initC
v_accvgpr_write acc60, 0x0                         // initC
v_accvgpr_write acc61, 0x0                         // initC
v_accvgpr_write acc62, 0x0                         // initC
v_accvgpr_write acc63, 0x0                         // initC

s_cmp_eq_u32 s[sgprLoopCounterL], 0                // at last iteration?

/* after InitC, skip to end of prefetch last iter if numIter==0 */
s_cbranch_scc0 label_NoBranch_11                   // Only branch on scc1
s_getpc_B64 s[32:33]                               // addr of next instr
s_add_i32 s34, PrefetchGlobalLastIterEnd_5, 0x4    // target branch offset
s_add_u32 s32, s32, s34                            // add target branch offset
s_addc_u32 s33, s33, 0                             // add high and carry
s_setpc_b64 s[32:33]                               // branch to PrefetchGlobalLastIterEnd_5
label_NoBranch_11:

s_waitcnt vmcnt(0)                                 // lgkmcnt=-1 vmcnt=0 8wait for global read


/* local write a */
_ds_store_b128 v[vgprLocalWriteAddrA], v[vgprG2LA+0:vgprG2LA+0+3] offset:0 // lwoA_0_0_0_0 = (0*LSCA) + (0*LSPA)(*MT0I+PAD) = 0
_ds_store_b128 v[vgprLocalWriteAddrA], v[vgprG2LA+4:vgprG2LA+4+3] offset:1024 // lwoA_1_0_0_0 = (1*LSCA) + (0*LSPA)(*MT0I+PAD) = 1024
_ds_store_b128 v[vgprLocalWriteAddrA], v[vgprG2LA+8:vgprG2LA+8+3] offset:2048 // lwoA_0_0_1_0 = (0*LSCA) + (1*LSPA)(*MT0I+PAD) = 2048
_ds_store_b128 v[vgprLocalWriteAddrA], v[vgprG2LA+12:vgprG2LA+12+3] offset:3072 // lwoA_1_0_1_0 = (1*LSCA) + (1*LSPA)(*MT0I+PAD) = 3072
_ds_store_b128 v[vgprLocalWriteAddrA], v[vgprG2LA+16:vgprG2LA+16+3] offset:4096 // lwoA_0_0_2_0 = (0*LSCA) + (2*LSPA)(*MT0I+PAD) = 4096
_ds_store_b128 v[vgprLocalWriteAddrA], v[vgprG2LA+20:vgprG2LA+20+3] offset:5120 // lwoA_1_0_2_0 = (1*LSCA) + (2*LSPA)(*MT0I+PAD) = 5120
_ds_store_b128 v[vgprLocalWriteAddrA], v[vgprG2LA+24:vgprG2LA+24+3] offset:6144 // lwoA_0_0_3_0 = (0*LSCA) + (3*LSPA)(*MT0I+PAD) = 6144
_ds_store_b128 v[vgprLocalWriteAddrA], v[vgprG2LA+28:vgprG2LA+28+3] offset:7168 // lwoA_1_0_3_0 = (1*LSCA) + (3*LSPA)(*MT0I+PAD) = 7168
_ds_store_b128 v[vgprLocalWriteAddrA], v[vgprG2LA+32:vgprG2LA+32+3] offset:8192 // lwoA_0_0_4_0 = (0*LSCA) + (4*LSPA)(*MT0I+PAD) = 8192
_ds_store_b128 v[vgprLocalWriteAddrA], v[vgprG2LA+36:vgprG2LA+36+3] offset:9216 // lwoA_1_0_4_0 = (1*LSCA) + (4*LSPA)(*MT0I+PAD) = 9216
_ds_store_b128 v[vgprLocalWriteAddrA], v[vgprG2LA+40:vgprG2LA+40+3] offset:10240 // lwoA_0_0_5_0 = (0*LSCA) + (5*LSPA)(*MT0I+PAD) = 10240
_ds_store_b128 v[vgprLocalWriteAddrA], v[vgprG2LA+44:vgprG2LA+44+3] offset:11264 // lwoA_1_0_5_0 = (1*LSCA) + (5*LSPA)(*MT0I+PAD) = 11264
_ds_store_b128 v[vgprLocalWriteAddrA], v[vgprG2LA+48:vgprG2LA+48+3] offset:12288 // lwoA_0_0_6_0 = (0*LSCA) + (6*LSPA)(*MT0I+PAD) = 12288
_ds_store_b128 v[vgprLocalWriteAddrA], v[vgprG2LA+52:vgprG2LA+52+3] offset:13312 // lwoA_1_0_6_0 = (1*LSCA) + (6*LSPA)(*MT0I+PAD) = 13312
_ds_store_b128 v[vgprLocalWriteAddrA], v[vgprG2LA+56:vgprG2LA+56+3] offset:14336 // lwoA_0_0_7_0 = (0*LSCA) + (7*LSPA)(*MT0I+PAD) = 14336
_ds_store_b128 v[vgprLocalWriteAddrA], v[vgprG2LA+60:vgprG2LA+60+3] offset:15360 // lwoA_1_0_7_0 = (1*LSCA) + (7*LSPA)(*MT0I+PAD) = 15360

/* local write b */
_ds_store_b128 v[vgprLocalWriteAddrB], v[vgprG2LB+0:vgprG2LB+0+3] offset:0 // lwoB_0_0_0_0 = (0*LSCB)*(MT1J+PAD) + (0*LSPB) = 0


/* local write swap a */


	;; [unrolled: 1-line block ×3, first 2 shown]
/* local write swap b */


	;; [unrolled: 1-line block ×4, first 2 shown]
s_cmp_eq_u32 s[sgprLoopCounterL] 0x1               // PGR=2 but only 1 loop
s_cbranch_scc1 label_0012                          // PGR=2 but only 1 loop


_buffer_load_b128 v[vgprG2LA+0:vgprG2LA+0+3], v[vgprGlobalReadOffsetA+0], s[sgprSrdA:sgprSrdA+3], 0, offen offset:0 // G -> Reg 0_0_0_0
_buffer_load_b128 v[vgprG2LA+4:vgprG2LA+4+3], v[vgprGlobalReadOffsetA+0], s[sgprSrdA:sgprSrdA+3], s[sgprScalarGlobalReadOffsetA+0], offen offset:0 // G -> Reg 1_0_0_0
_buffer_load_b128 v[vgprG2LA+8:vgprG2LA+8+3], v[vgprGlobalReadOffsetA+0], s[sgprSrdA:sgprSrdA+3], s[sgprScalarGlobalReadOffsetA+1], offen offset:0 // G -> Reg 0_0_1_0
_buffer_load_b128 v[vgprG2LA+12:vgprG2LA+12+3], v[vgprGlobalReadOffsetA+0], s[sgprSrdA:sgprSrdA+3], s[sgprScalarGlobalReadOffsetA+2], offen offset:0 // G -> Reg 1_0_1_0
_buffer_load_b128 v[vgprG2LA+16:vgprG2LA+16+3], v[vgprGlobalReadOffsetA+0], s[sgprSrdA:sgprSrdA+3], s[sgprScalarGlobalReadOffsetA+3], offen offset:0 // G -> Reg 0_0_2_0
_buffer_load_b128 v[vgprG2LA+20:vgprG2LA+20+3], v[vgprGlobalReadOffsetA+0], s[sgprSrdA:sgprSrdA+3], s[sgprScalarGlobalReadOffsetA+4], offen offset:0 // G -> Reg 1_0_2_0
_buffer_load_b128 v[vgprG2LA+24:vgprG2LA+24+3], v[vgprGlobalReadOffsetA+0], s[sgprSrdA:sgprSrdA+3], s[sgprScalarGlobalReadOffsetA+5], offen offset:0 // G -> Reg 0_0_3_0
_buffer_load_b128 v[vgprG2LA+28:vgprG2LA+28+3], v[vgprGlobalReadOffsetA+0], s[sgprSrdA:sgprSrdA+3], s[sgprScalarGlobalReadOffsetA+6], offen offset:0 // G -> Reg 1_0_3_0
_buffer_load_b128 v[vgprG2LA+32:vgprG2LA+32+3], v[vgprGlobalReadOffsetA+0], s[sgprSrdA:sgprSrdA+3], s[sgprScalarGlobalReadOffsetA+7], offen offset:0 // G -> Reg 0_0_4_0
_buffer_load_b128 v[vgprG2LA+36:vgprG2LA+36+3], v[vgprGlobalReadOffsetA+0], s[sgprSrdA:sgprSrdA+3], s[sgprScalarGlobalReadOffsetA+8], offen offset:0 // G -> Reg 1_0_4_0
_buffer_load_b128 v[vgprG2LA+40:vgprG2LA+40+3], v[vgprGlobalReadOffsetA+0], s[sgprSrdA:sgprSrdA+3], s[sgprScalarGlobalReadOffsetA+9], offen offset:0 // G -> Reg 0_0_5_0
_buffer_load_b128 v[vgprG2LA+44:vgprG2LA+44+3], v[vgprGlobalReadOffsetA+0], s[sgprSrdA:sgprSrdA+3], s[sgprScalarGlobalReadOffsetA+10], offen offset:0 // G -> Reg 1_0_5_0
_buffer_load_b128 v[vgprG2LA+48:vgprG2LA+48+3], v[vgprGlobalReadOffsetA+0], s[sgprSrdA:sgprSrdA+3], s[sgprScalarGlobalReadOffsetA+11], offen offset:0 // G -> Reg 0_0_6_0
_buffer_load_b128 v[vgprG2LA+52:vgprG2LA+52+3], v[vgprGlobalReadOffsetA+0], s[sgprSrdA:sgprSrdA+3], s[sgprScalarGlobalReadOffsetA+12], offen offset:0 // G -> Reg 1_0_6_0
_buffer_load_b128 v[vgprG2LA+56:vgprG2LA+56+3], v[vgprGlobalReadOffsetA+0], s[sgprSrdA:sgprSrdA+3], s[sgprScalarGlobalReadOffsetA+13], offen offset:0 // G -> Reg 0_0_7_0
_buffer_load_b128 v[vgprG2LA+60:vgprG2LA+60+3], v[vgprGlobalReadOffsetA+0], s[sgprSrdA:sgprSrdA+3], s[sgprScalarGlobalReadOffsetA+14], offen offset:0 // G -> Reg 1_0_7_0


_buffer_load_b128 v[vgprG2LB+0:vgprG2LB+0+3], v[vgprGlobalReadOffsetB+0], s[sgprSrdB:sgprSrdB+3], 0, offen offset:0 // G -> Reg 0_0_0_0

label_0012:                                        // 

s_waitcnt lgkmcnt(0)                               // lgkmcnt=0 vmcnt=-10prefetch wait for local write

// Skip barrier: NumThreads=64


/* local read prefetch a */

_ds_load_b128 v[vgprValuA_X0_I0+0:vgprValuA_X0_I0+0+3], v[vgprLocalReadAddrA] offset:0 // L -> Reg lro=0 swapByteOffset=0 ti=8 vIdx=0 rIdx=0 oIdx=0 buffer=0 iui=0
_ds_load_b128 v[vgprValuA_X0_I0+4:vgprValuA_X0_I0+4+3], v[vgprLocalReadAddrA] offset:128 // L -> Reg lro=0 swapByteOffset=0 ti=8 vIdx=1 rIdx=0 oIdx=0 buffer=0 iui=0
	;; [unrolled: 1-line block ×16, first 2 shown]


/* local read prefetch b */

_ds_load_b128 v[vgprValuB_X0_I0+0:vgprValuB_X0_I0+0+3], v[vgprLocalReadAddrB] offset:0 // L -> Reg lro=0 swapByteOffset=0 ti=8 vIdx=0 rIdx=0 oIdx=0 buffer=0 iui=0


/* local read inc a */

/* N/A, lro->512 */
/* self.localReadDoCntA 1 self.localReadDoCntB 1 */


/* local read inc b */

/* N/A, lro->4 */
/* self.localReadDoCntA 1 self.localReadDoCntB 1 */


	;; [unrolled: 1-line block ×3, first 2 shown]
/******************************************/
/* Unrolled Loop(s) - Begin               */
/******************************************/

openLoopL_13:
s_cmp_eq_u32 s[sgprLoopCounterL], 0x1              // LoopCounterL < EndCounter
s_cbranch_scc1 label_0014                          // PGR=2 but only 1 loop, toPGR1
s_cmp_le_u32 s[sgprLoopCounterL], 0x2              // LoopCounterL < EndCounter
s_cbranch_scc1 LoopEndL_evenexit_4                 // do not enter LoopL
LoopBeginL_1:


/******************************************/
/* Unrolled Loop 1/2 - Begin              */
/******************************************/

label_0015: // LoopCopy1 


/* Begin Each Unroll: Check VGPR.checkin for INT8 LW */



/* iter 0 (reset local read pointers iteration)  (swap local read pointers iteration)  */

/*  grEndMfmaIndex:12, lwStartMfmaIndex:38, lwEndMfmaIndex:89  */
/*  numMfmaForLR:36, barrierMfmaIndex:91, LocalWritePerMfma:0.320 */
/*  mfmaIndex:0  */
s_waitcnt lgkmcnt(0)                               // lgkmcnt=0 vmcnt=-1wait for prior local read local write old=0, new=0 newLW=0 newLR=0
v_add_f64 v[212:213], -v[vgprValuA_X0_I0+0+0+0+2:vgprValuA_X0_I0+0+0+0+2+1], 0 // Ai=-Ai
v_mfma_f64_4x4x4f64 a[0+0:1+0], v[vgprValuB_X0_I0+0+0+0:vgprValuB_X0_I0+0+0+0+1], v[vgprValuA_X0_I0+0+0+0:vgprValuA_X0_I0+0+0+0+1], a[0:1]
 // Cr += Ar*Br
/*  mfmaIndex:1  */
_ds_load_b128 v[vgprValuA_X1_I0+0:vgprValuA_X1_I0+0+3], v[vgprLocalReadAddrA] offset:8192 // L -> Reg lro=512 swapByteOffset=0 ti=8 vIdx=0 rIdx=0 oIdx=0 buffer=1 iui=0

/* global read inc A loopL */
s_add_u32 s[sgprSrdA+0], s[sgprSrdA+0], s[sgprGlobalReadIncsA+0] // gra SRD += inc(lower)
v_mfma_f64_4x4x4f64 a[32+0:33+0], v[vgprValuB_X0_I0+0+0+0:vgprValuB_X0_I0+0+0+0+1], v[vgprValuA_X0_I0+0+0+0+2:vgprValuA_X0_I0+0+0+0+2+1], a[32:33]
 // Ci += Ai*Br
/*  mfmaIndex:2  */
_ds_load_b128 v[vgprValuB_X1_I0+0:vgprValuB_X1_I0+0+3], v[vgprLocalReadAddrB] offset:64 // L -> Reg lro=4 swapByteOffset=0 ti=8 vIdx=0 rIdx=0 oIdx=0 buffer=1 iui=0
s_addc_u32  s[sgprSrdA+1], s[sgprSrdA+1], 0        // gra SRD += inc(upper)
v_mfma_f64_4x4x4f64 a[0+0:1+0], v[vgprValuB_X0_I0+0+0+0+2:vgprValuB_X0_I0+0+0+0+2+1], v[212:213], a[0:1]
 // Cr += -Ai*Bi
/*  mfmaIndex:3  */
_ds_load_b128 v[vgprValuA_X1_I0+4:vgprValuA_X1_I0+4+3], v[vgprLocalReadAddrA] offset:8320 // L -> Reg lro=512 swapByteOffset=0 ti=8 vIdx=1 rIdx=0 oIdx=0 buffer=1 iui=0
s_sub_u32 s[sgprShadowLimitA+0], s[sgprShadowLimitA+0], s[sgprGlobalReadIncsA+0] // limit -= inc)
v_mfma_f64_4x4x4f64 a[32+0:33+0], v[vgprValuB_X0_I0+0+0+0+2:vgprValuB_X0_I0+0+0+0+2+1], v[vgprValuA_X0_I0+0+0+0:vgprValuA_X0_I0+0+0+0+1], a[32:33]
 // Ci += Ar*Bi
/*  mfmaIndex:4  */
_ds_load_b128 v[vgprValuA_X1_I0+8:vgprValuA_X1_I0+8+3], v[vgprLocalReadAddrA] offset:8448 // L -> Reg lro=512 swapByteOffset=0 ti=8 vIdx=2 rIdx=0 oIdx=0 buffer=1 iui=0
s_subb_u32 s[sgprShadowLimitA+1], s[sgprShadowLimitA+1], 0 // limit -= inc)
v_add_f64 v[212:213], -v[vgprValuA_X0_I0+4+0+0+2:vgprValuA_X0_I0+4+0+0+2+1], 0 // Ai=-Ai
v_mfma_f64_4x4x4f64 a[2+0:3+0], v[vgprValuB_X0_I0+0+0+0:vgprValuB_X0_I0+0+0+0+1], v[vgprValuA_X0_I0+4+0+0:vgprValuA_X0_I0+4+0+0+1], a[2:3]
 // Cr += Ar*Br
/*  mfmaIndex:5  */
_ds_load_b128 v[vgprValuA_X1_I0+12:vgprValuA_X1_I0+12+3], v[vgprLocalReadAddrA] offset:8576 // L -> Reg lro=512 swapByteOffset=0 ti=8 vIdx=3 rIdx=0 oIdx=0 buffer=1 iui=0
s_cmp_eq_u32 s[sgprShadowLimitA+1], 0              // are we within 2^32?
v_mfma_f64_4x4x4f64 a[34+0:35+0], v[vgprValuB_X0_I0+0+0+0:vgprValuB_X0_I0+0+0+0+1], v[vgprValuA_X0_I0+4+0+0+2:vgprValuA_X0_I0+4+0+0+2+1], a[34:35]
 // Ci += Ai*Br
/*  mfmaIndex:6  */
_ds_load_b128 v[vgprValuA_X1_I0+16:vgprValuA_X1_I0+16+3], v[vgprLocalReadAddrA] offset:8704 // L -> Reg lro=512 swapByteOffset=0 ti=8 vIdx=4 rIdx=0 oIdx=0 buffer=1 iui=0
s_cmov_b32 s[sgprSrdA+2], s[sgprShadowLimitA+0]    // Move shadow to real if we are within 2^32
v_mfma_f64_4x4x4f64 a[2+0:3+0], v[vgprValuB_X0_I0+0+0+0+2:vgprValuB_X0_I0+0+0+0+2+1], v[212:213], a[2:3]
 // Cr += -Ai*Bi
/*  mfmaIndex:7  */
_ds_load_b128 v[vgprValuA_X1_I0+20:vgprValuA_X1_I0+20+3], v[vgprLocalReadAddrA] offset:8832 // L -> Reg lro=512 swapByteOffset=0 ti=8 vIdx=5 rIdx=0 oIdx=0 buffer=1 iui=0

/* global read inc B loopL */
s_add_u32 s[sgprSrdB+0], s[sgprSrdB+0], s[sgprGlobalReadIncsB+0] // gra SRD += inc(lower)
v_mfma_f64_4x4x4f64 a[34+0:35+0], v[vgprValuB_X0_I0+0+0+0+2:vgprValuB_X0_I0+0+0+0+2+1], v[vgprValuA_X0_I0+4+0+0:vgprValuA_X0_I0+4+0+0+1], a[34:35]
 // Ci += Ar*Bi
/*  mfmaIndex:8  */
_ds_load_b128 v[vgprValuA_X1_I0+24:vgprValuA_X1_I0+24+3], v[vgprLocalReadAddrA] offset:8960 // L -> Reg lro=512 swapByteOffset=0 ti=8 vIdx=6 rIdx=0 oIdx=0 buffer=1 iui=0
s_addc_u32  s[sgprSrdB+1], s[sgprSrdB+1], 0        // gra SRD += inc(upper)
v_add_f64 v[212:213], -v[vgprValuA_X0_I0+8+0+0+2:vgprValuA_X0_I0+8+0+0+2+1], 0 // Ai=-Ai
v_mfma_f64_4x4x4f64 a[4+0:5+0], v[vgprValuB_X0_I0+0+0+0:vgprValuB_X0_I0+0+0+0+1], v[vgprValuA_X0_I0+8+0+0:vgprValuA_X0_I0+8+0+0+1], a[4:5]
 // Cr += Ar*Br
/*  mfmaIndex:9  */
_ds_load_b128 v[vgprValuA_X1_I0+28:vgprValuA_X1_I0+28+3], v[vgprLocalReadAddrA] offset:9088 // L -> Reg lro=512 swapByteOffset=0 ti=8 vIdx=7 rIdx=0 oIdx=0 buffer=1 iui=0
s_sub_u32 s[sgprShadowLimitB+0], s[sgprShadowLimitB+0], s[sgprGlobalReadIncsB+0] // limit -= inc)
v_mfma_f64_4x4x4f64 a[36+0:37+0], v[vgprValuB_X0_I0+0+0+0:vgprValuB_X0_I0+0+0+0+1], v[vgprValuA_X0_I0+8+0+0+2:vgprValuA_X0_I0+8+0+0+2+1], a[36:37]
 // Ci += Ai*Br
/*  mfmaIndex:10  */
_ds_load_b128 v[vgprValuA_X1_I0+32:vgprValuA_X1_I0+32+3], v[vgprLocalReadAddrA] offset:9216 // L -> Reg lro=512 swapByteOffset=0 ti=8 vIdx=8 rIdx=0 oIdx=0 buffer=1 iui=0
s_subb_u32 s[sgprShadowLimitB+1], s[sgprShadowLimitB+1], 0 // limit -= inc)
v_mfma_f64_4x4x4f64 a[4+0:5+0], v[vgprValuB_X0_I0+0+0+0+2:vgprValuB_X0_I0+0+0+0+2+1], v[212:213], a[4:5]
 // Cr += -Ai*Bi
/*  mfmaIndex:11  */
_ds_load_b128 v[vgprValuA_X1_I0+36:vgprValuA_X1_I0+36+3], v[vgprLocalReadAddrA] offset:9344 // L -> Reg lro=512 swapByteOffset=0 ti=8 vIdx=9 rIdx=0 oIdx=0 buffer=1 iui=0
s_cmp_eq_u32 s[sgprShadowLimitB+1], 0              // are we within 2^32?
v_mfma_f64_4x4x4f64 a[36+0:37+0], v[vgprValuB_X0_I0+0+0+0+2:vgprValuB_X0_I0+0+0+0+2+1], v[vgprValuA_X0_I0+8+0+0:vgprValuA_X0_I0+8+0+0+1], a[36:37]
 // Ci += Ar*Bi
/*  mfmaIndex:12  */
_ds_load_b128 v[vgprValuA_X1_I0+40:vgprValuA_X1_I0+40+3], v[vgprLocalReadAddrA] offset:9472 // L -> Reg lro=512 swapByteOffset=0 ti=8 vIdx=10 rIdx=0 oIdx=0 buffer=1 iui=0
s_cmov_b32 s[sgprSrdB+2], s[sgprShadowLimitB+0]    // Move shadow to real if we are within 2^32
v_add_f64 v[212:213], -v[vgprValuA_X0_I0+12+0+0+2:vgprValuA_X0_I0+12+0+0+2+1], 0 // Ai=-Ai
v_mfma_f64_4x4x4f64 a[6+0:7+0], v[vgprValuB_X0_I0+0+0+0:vgprValuB_X0_I0+0+0+0+1], v[vgprValuA_X0_I0+12+0+0:vgprValuA_X0_I0+12+0+0+1], a[6:7]
 // Cr += Ar*Br
/*  mfmaIndex:13  */
_ds_load_b128 v[vgprValuA_X1_I0+44:vgprValuA_X1_I0+44+3], v[vgprLocalReadAddrA] offset:9600 // L -> Reg lro=512 swapByteOffset=0 ti=8 vIdx=11 rIdx=0 oIdx=0 buffer=1 iui=0
v_mfma_f64_4x4x4f64 a[38+0:39+0], v[vgprValuB_X0_I0+0+0+0:vgprValuB_X0_I0+0+0+0+1], v[vgprValuA_X0_I0+12+0+0+2:vgprValuA_X0_I0+12+0+0+2+1], a[38:39]
 // Ci += Ai*Br
/*  mfmaIndex:14  */
_ds_load_b128 v[vgprValuA_X1_I0+48:vgprValuA_X1_I0+48+3], v[vgprLocalReadAddrA] offset:9728 // L -> Reg lro=512 swapByteOffset=0 ti=8 vIdx=12 rIdx=0 oIdx=0 buffer=1 iui=0
v_mfma_f64_4x4x4f64 a[6+0:7+0], v[vgprValuB_X0_I0+0+0+0+2:vgprValuB_X0_I0+0+0+0+2+1], v[212:213], a[6:7]
 // Cr += -Ai*Bi
/*  mfmaIndex:15  */
_ds_load_b128 v[vgprValuA_X1_I0+52:vgprValuA_X1_I0+52+3], v[vgprLocalReadAddrA] offset:9856 // L -> Reg lro=512 swapByteOffset=0 ti=8 vIdx=13 rIdx=0 oIdx=0 buffer=1 iui=0
v_mfma_f64_4x4x4f64 a[38+0:39+0], v[vgprValuB_X0_I0+0+0+0+2:vgprValuB_X0_I0+0+0+0+2+1], v[vgprValuA_X0_I0+12+0+0:vgprValuA_X0_I0+12+0+0+1], a[38:39]
 // Ci += Ar*Bi
/*  mfmaIndex:16  */
_ds_load_b128 v[vgprValuA_X1_I0+56:vgprValuA_X1_I0+56+3], v[vgprLocalReadAddrA] offset:9984 // L -> Reg lro=512 swapByteOffset=0 ti=8 vIdx=14 rIdx=0 oIdx=0 buffer=1 iui=0
v_add_f64 v[212:213], -v[vgprValuA_X0_I0+16+0+0+2:vgprValuA_X0_I0+16+0+0+2+1], 0 // Ai=-Ai
v_mfma_f64_4x4x4f64 a[8+0:9+0], v[vgprValuB_X0_I0+0+0+0:vgprValuB_X0_I0+0+0+0+1], v[vgprValuA_X0_I0+16+0+0:vgprValuA_X0_I0+16+0+0+1], a[8:9]
 // Cr += Ar*Br
/*  mfmaIndex:17  */
_ds_load_b128 v[vgprValuA_X1_I0+60:vgprValuA_X1_I0+60+3], v[vgprLocalReadAddrA] offset:10112 // L -> Reg lro=512 swapByteOffset=0 ti=8 vIdx=15 rIdx=0 oIdx=0 buffer=1 iui=0
v_mfma_f64_4x4x4f64 a[40+0:41+0], v[vgprValuB_X0_I0+0+0+0:vgprValuB_X0_I0+0+0+0+1], v[vgprValuA_X0_I0+16+0+0+2:vgprValuA_X0_I0+16+0+0+2+1], a[40:41]
 // Ci += Ai*Br
/*  mfmaIndex:18  */
/* localReadsVacancy: latencyLeft 1 */
v_mfma_f64_4x4x4f64 a[8+0:9+0], v[vgprValuB_X0_I0+0+0+0+2:vgprValuB_X0_I0+0+0+0+2+1], v[212:213], a[8:9]
 // Cr += -Ai*Bi
/*  mfmaIndex:19  */
/* localReadsVacancy: latencyLeft 1 */
v_mfma_f64_4x4x4f64 a[40+0:41+0], v[vgprValuB_X0_I0+0+0+0+2:vgprValuB_X0_I0+0+0+0+2+1], v[vgprValuA_X0_I0+16+0+0:vgprValuA_X0_I0+16+0+0+1], a[40:41]
 // Ci += Ar*Bi
/*  mfmaIndex:20  */
/* localReadsVacancy: latencyLeft 1 */
v_add_f64 v[212:213], -v[vgprValuA_X0_I0+20+0+0+2:vgprValuA_X0_I0+20+0+0+2+1], 0 // Ai=-Ai
v_mfma_f64_4x4x4f64 a[10+0:11+0], v[vgprValuB_X0_I0+0+0+0:vgprValuB_X0_I0+0+0+0+1], v[vgprValuA_X0_I0+20+0+0:vgprValuA_X0_I0+20+0+0+1], a[10:11]
 // Cr += Ar*Br
/*  mfmaIndex:21  */
/* localReadsVacancy: latencyLeft 1 */
v_mfma_f64_4x4x4f64 a[42+0:43+0], v[vgprValuB_X0_I0+0+0+0:vgprValuB_X0_I0+0+0+0+1], v[vgprValuA_X0_I0+20+0+0+2:vgprValuA_X0_I0+20+0+0+2+1], a[42:43]
 // Ci += Ai*Br
/*  mfmaIndex:22  */
/* localReadsVacancy: latencyLeft 1 */
v_mfma_f64_4x4x4f64 a[10+0:11+0], v[vgprValuB_X0_I0+0+0+0+2:vgprValuB_X0_I0+0+0+0+2+1], v[212:213], a[10:11]
 // Cr += -Ai*Bi
/*  mfmaIndex:23  */
/* localReadsVacancy: latencyLeft 1 */
v_mfma_f64_4x4x4f64 a[42+0:43+0], v[vgprValuB_X0_I0+0+0+0+2:vgprValuB_X0_I0+0+0+0+2+1], v[vgprValuA_X0_I0+20+0+0:vgprValuA_X0_I0+20+0+0+1], a[42:43]
 // Ci += Ar*Bi
/*  mfmaIndex:24  */
/* localReadsVacancy: latencyLeft 1 */
v_add_f64 v[212:213], -v[vgprValuA_X0_I0+24+0+0+2:vgprValuA_X0_I0+24+0+0+2+1], 0 // Ai=-Ai
v_mfma_f64_4x4x4f64 a[12+0:13+0], v[vgprValuB_X0_I0+0+0+0:vgprValuB_X0_I0+0+0+0+1], v[vgprValuA_X0_I0+24+0+0:vgprValuA_X0_I0+24+0+0+1], a[12:13]
 // Cr += Ar*Br
/*  mfmaIndex:25  */
/* localReadsVacancy: latencyLeft 1 */
	;; [unrolled: 17-line block ×5, first 2 shown]
/* 1 LDS buffer: read-sync-write */
s_waitcnt lgkmcnt(0)                               // 
s_barrier                                          // 
v_mfma_f64_4x4x4f64 a[50+0:51+0], v[vgprValuB_X0_I0+0+0+0:vgprValuB_X0_I0+0+0+0+1], v[vgprValuA_X0_I0+36+0+0+2:vgprValuA_X0_I0+36+0+0+2+1], a[50:51]
 // Ci += Ai*Br
/*  mfmaIndex:38  */
/* sched write - iter 0 writesPerItem=1 */
s_waitcnt vmcnt(0)                                 // lgkmcnt=-1 vmcnt=0wait for global read before writing to local
_ds_store_b128 v[vgprLocalWriteAddrA], v[vgprG2LA+0:vgprG2LA+0+3] offset:0 // lwoA_0_0_0_0 = (0*LSCA) + (0*LSPA)(*MT0I+PAD) = 0
v_mfma_f64_4x4x4f64 a[18+0:19+0], v[vgprValuB_X0_I0+0+0+0+2:vgprValuB_X0_I0+0+0+0+2+1], v[212:213], a[18:19]
 // Cr += -Ai*Bi
/*  mfmaIndex:39  */
_buffer_load_b128 v[vgprG2LA+0:vgprG2LA+0+3], v[vgprGlobalReadOffsetA+0], s[sgprSrdA:sgprSrdA+3], 0, offen offset:0 // G -> Reg 0_0_0_0
v_mfma_f64_4x4x4f64 a[50+0:51+0], v[vgprValuB_X0_I0+0+0+0+2:vgprValuB_X0_I0+0+0+0+2+1], v[vgprValuA_X0_I0+36+0+0:vgprValuA_X0_I0+36+0+0+1], a[50:51]
 // Ci += Ar*Bi
/*  mfmaIndex:40  */
v_add_f64 v[212:213], -v[vgprValuA_X0_I0+40+0+0+2:vgprValuA_X0_I0+40+0+0+2+1], 0 // Ai=-Ai
v_mfma_f64_4x4x4f64 a[20+0:21+0], v[vgprValuB_X0_I0+0+0+0:vgprValuB_X0_I0+0+0+0+1], v[vgprValuA_X0_I0+40+0+0:vgprValuA_X0_I0+40+0+0+1], a[20:21]
 // Cr += Ar*Br
/*  mfmaIndex:41  */
/* sched write - iter 0 writesPerItem=1 */
s_waitcnt vmcnt(0)                                 // lgkmcnt=-1 vmcnt=0wait for global read before writing to local
_ds_store_b128 v[vgprLocalWriteAddrA], v[vgprG2LA+4:vgprG2LA+4+3] offset:1024 // lwoA_1_0_0_0 = (1*LSCA) + (0*LSPA)(*MT0I+PAD) = 1024
v_mfma_f64_4x4x4f64 a[52+0:53+0], v[vgprValuB_X0_I0+0+0+0:vgprValuB_X0_I0+0+0+0+1], v[vgprValuA_X0_I0+40+0+0+2:vgprValuA_X0_I0+40+0+0+2+1], a[52:53]
 // Ci += Ai*Br
/*  mfmaIndex:42  */
_buffer_load_b128 v[vgprG2LA+4:vgprG2LA+4+3], v[vgprGlobalReadOffsetA+0], s[sgprSrdA:sgprSrdA+3], s[sgprScalarGlobalReadOffsetA+0], offen offset:0 // G -> Reg 1_0_0_0
v_mfma_f64_4x4x4f64 a[20+0:21+0], v[vgprValuB_X0_I0+0+0+0+2:vgprValuB_X0_I0+0+0+0+2+1], v[212:213], a[20:21]
 // Cr += -Ai*Bi
/*  mfmaIndex:43  */
v_mfma_f64_4x4x4f64 a[52+0:53+0], v[vgprValuB_X0_I0+0+0+0+2:vgprValuB_X0_I0+0+0+0+2+1], v[vgprValuA_X0_I0+40+0+0:vgprValuA_X0_I0+40+0+0+1], a[52:53]
 // Ci += Ar*Bi
/*  mfmaIndex:44  */
/* sched write - iter 0 writesPerItem=1 */
s_waitcnt vmcnt(0)                                 // lgkmcnt=-1 vmcnt=0wait for global read before writing to local
_ds_store_b128 v[vgprLocalWriteAddrA], v[vgprG2LA+8:vgprG2LA+8+3] offset:2048 // lwoA_0_0_1_0 = (0*LSCA) + (1*LSPA)(*MT0I+PAD) = 2048
v_add_f64 v[212:213], -v[vgprValuA_X0_I0+44+0+0+2:vgprValuA_X0_I0+44+0+0+2+1], 0 // Ai=-Ai
v_mfma_f64_4x4x4f64 a[22+0:23+0], v[vgprValuB_X0_I0+0+0+0:vgprValuB_X0_I0+0+0+0+1], v[vgprValuA_X0_I0+44+0+0:vgprValuA_X0_I0+44+0+0+1], a[22:23]
 // Cr += Ar*Br
/*  mfmaIndex:45  */
_buffer_load_b128 v[vgprG2LA+8:vgprG2LA+8+3], v[vgprGlobalReadOffsetA+0], s[sgprSrdA:sgprSrdA+3], s[sgprScalarGlobalReadOffsetA+1], offen offset:0 // G -> Reg 0_0_1_0
v_mfma_f64_4x4x4f64 a[54+0:55+0], v[vgprValuB_X0_I0+0+0+0:vgprValuB_X0_I0+0+0+0+1], v[vgprValuA_X0_I0+44+0+0+2:vgprValuA_X0_I0+44+0+0+2+1], a[54:55]
 // Ci += Ai*Br
/*  mfmaIndex:46  */
v_mfma_f64_4x4x4f64 a[22+0:23+0], v[vgprValuB_X0_I0+0+0+0+2:vgprValuB_X0_I0+0+0+0+2+1], v[212:213], a[22:23]
 // Cr += -Ai*Bi
/*  mfmaIndex:47  */
/* sched write - iter 0 writesPerItem=1 */
s_waitcnt vmcnt(0)                                 // lgkmcnt=-1 vmcnt=0wait for global read before writing to local
_ds_store_b128 v[vgprLocalWriteAddrA], v[vgprG2LA+12:vgprG2LA+12+3] offset:3072 // lwoA_1_0_1_0 = (1*LSCA) + (1*LSPA)(*MT0I+PAD) = 3072
v_mfma_f64_4x4x4f64 a[54+0:55+0], v[vgprValuB_X0_I0+0+0+0+2:vgprValuB_X0_I0+0+0+0+2+1], v[vgprValuA_X0_I0+44+0+0:vgprValuA_X0_I0+44+0+0+1], a[54:55]
 // Ci += Ar*Bi
/*  mfmaIndex:48  */
_buffer_load_b128 v[vgprG2LA+12:vgprG2LA+12+3], v[vgprGlobalReadOffsetA+0], s[sgprSrdA:sgprSrdA+3], s[sgprScalarGlobalReadOffsetA+2], offen offset:0 // G -> Reg 1_0_1_0
v_add_f64 v[212:213], -v[vgprValuA_X0_I0+48+0+0+2:vgprValuA_X0_I0+48+0+0+2+1], 0 // Ai=-Ai
v_mfma_f64_4x4x4f64 a[24+0:25+0], v[vgprValuB_X0_I0+0+0+0:vgprValuB_X0_I0+0+0+0+1], v[vgprValuA_X0_I0+48+0+0:vgprValuA_X0_I0+48+0+0+1], a[24:25]
 // Cr += Ar*Br
/*  mfmaIndex:49  */
v_mfma_f64_4x4x4f64 a[56+0:57+0], v[vgprValuB_X0_I0+0+0+0:vgprValuB_X0_I0+0+0+0+1], v[vgprValuA_X0_I0+48+0+0+2:vgprValuA_X0_I0+48+0+0+2+1], a[56:57]
 // Ci += Ai*Br
/*  mfmaIndex:50  */
/* sched write - iter 0 writesPerItem=1 */
s_waitcnt vmcnt(0)                                 // lgkmcnt=-1 vmcnt=0wait for global read before writing to local
_ds_store_b128 v[vgprLocalWriteAddrA], v[vgprG2LA+16:vgprG2LA+16+3] offset:4096 // lwoA_0_0_2_0 = (0*LSCA) + (2*LSPA)(*MT0I+PAD) = 4096
v_mfma_f64_4x4x4f64 a[24+0:25+0], v[vgprValuB_X0_I0+0+0+0+2:vgprValuB_X0_I0+0+0+0+2+1], v[212:213], a[24:25]
 // Cr += -Ai*Bi
/*  mfmaIndex:51  */
_buffer_load_b128 v[vgprG2LA+16:vgprG2LA+16+3], v[vgprGlobalReadOffsetA+0], s[sgprSrdA:sgprSrdA+3], s[sgprScalarGlobalReadOffsetA+3], offen offset:0 // G -> Reg 0_0_2_0
v_mfma_f64_4x4x4f64 a[56+0:57+0], v[vgprValuB_X0_I0+0+0+0+2:vgprValuB_X0_I0+0+0+0+2+1], v[vgprValuA_X0_I0+48+0+0:vgprValuA_X0_I0+48+0+0+1], a[56:57]
 // Ci += Ar*Bi
/*  mfmaIndex:52  */
v_add_f64 v[212:213], -v[vgprValuA_X0_I0+52+0+0+2:vgprValuA_X0_I0+52+0+0+2+1], 0 // Ai=-Ai
v_mfma_f64_4x4x4f64 a[26+0:27+0], v[vgprValuB_X0_I0+0+0+0:vgprValuB_X0_I0+0+0+0+1], v[vgprValuA_X0_I0+52+0+0:vgprValuA_X0_I0+52+0+0+1], a[26:27]
 // Cr += Ar*Br
/*  mfmaIndex:53  */
/* sched write - iter 0 writesPerItem=1 */
s_waitcnt vmcnt(0)                                 // lgkmcnt=-1 vmcnt=0wait for global read before writing to local
_ds_store_b128 v[vgprLocalWriteAddrA], v[vgprG2LA+20:vgprG2LA+20+3] offset:5120 // lwoA_1_0_2_0 = (1*LSCA) + (2*LSPA)(*MT0I+PAD) = 5120
v_mfma_f64_4x4x4f64 a[58+0:59+0], v[vgprValuB_X0_I0+0+0+0:vgprValuB_X0_I0+0+0+0+1], v[vgprValuA_X0_I0+52+0+0+2:vgprValuA_X0_I0+52+0+0+2+1], a[58:59]
 // Ci += Ai*Br
/*  mfmaIndex:54  */
_buffer_load_b128 v[vgprG2LA+20:vgprG2LA+20+3], v[vgprGlobalReadOffsetA+0], s[sgprSrdA:sgprSrdA+3], s[sgprScalarGlobalReadOffsetA+4], offen offset:0 // G -> Reg 1_0_2_0
v_mfma_f64_4x4x4f64 a[26+0:27+0], v[vgprValuB_X0_I0+0+0+0+2:vgprValuB_X0_I0+0+0+0+2+1], v[212:213], a[26:27]
 // Cr += -Ai*Bi
/*  mfmaIndex:55  */
v_mfma_f64_4x4x4f64 a[58+0:59+0], v[vgprValuB_X0_I0+0+0+0+2:vgprValuB_X0_I0+0+0+0+2+1], v[vgprValuA_X0_I0+52+0+0:vgprValuA_X0_I0+52+0+0+1], a[58:59]
 // Ci += Ar*Bi
/*  mfmaIndex:56  */
/* sched write - iter 0 writesPerItem=1 */
s_waitcnt vmcnt(0)                                 // lgkmcnt=-1 vmcnt=0wait for global read before writing to local
_ds_store_b128 v[vgprLocalWriteAddrA], v[vgprG2LA+24:vgprG2LA+24+3] offset:6144 // lwoA_0_0_3_0 = (0*LSCA) + (3*LSPA)(*MT0I+PAD) = 6144
v_add_f64 v[212:213], -v[vgprValuA_X0_I0+56+0+0+2:vgprValuA_X0_I0+56+0+0+2+1], 0 // Ai=-Ai
v_mfma_f64_4x4x4f64 a[28+0:29+0], v[vgprValuB_X0_I0+0+0+0:vgprValuB_X0_I0+0+0+0+1], v[vgprValuA_X0_I0+56+0+0:vgprValuA_X0_I0+56+0+0+1], a[28:29]
 // Cr += Ar*Br
/*  mfmaIndex:57  */
_buffer_load_b128 v[vgprG2LA+24:vgprG2LA+24+3], v[vgprGlobalReadOffsetA+0], s[sgprSrdA:sgprSrdA+3], s[sgprScalarGlobalReadOffsetA+5], offen offset:0 // G -> Reg 0_0_3_0
v_mfma_f64_4x4x4f64 a[60+0:61+0], v[vgprValuB_X0_I0+0+0+0:vgprValuB_X0_I0+0+0+0+1], v[vgprValuA_X0_I0+56+0+0+2:vgprValuA_X0_I0+56+0+0+2+1], a[60:61]
 // Ci += Ai*Br
/*  mfmaIndex:58  */
v_mfma_f64_4x4x4f64 a[28+0:29+0], v[vgprValuB_X0_I0+0+0+0+2:vgprValuB_X0_I0+0+0+0+2+1], v[212:213], a[28:29]
 // Cr += -Ai*Bi
/*  mfmaIndex:59  */
/* sched write - iter 0 writesPerItem=1 */
s_waitcnt vmcnt(0)                                 // lgkmcnt=-1 vmcnt=0wait for global read before writing to local
_ds_store_b128 v[vgprLocalWriteAddrA], v[vgprG2LA+28:vgprG2LA+28+3] offset:7168 // lwoA_1_0_3_0 = (1*LSCA) + (3*LSPA)(*MT0I+PAD) = 7168
v_mfma_f64_4x4x4f64 a[60+0:61+0], v[vgprValuB_X0_I0+0+0+0+2:vgprValuB_X0_I0+0+0+0+2+1], v[vgprValuA_X0_I0+56+0+0:vgprValuA_X0_I0+56+0+0+1], a[60:61]
 // Ci += Ar*Bi
/*  mfmaIndex:60  */
_buffer_load_b128 v[vgprG2LA+28:vgprG2LA+28+3], v[vgprGlobalReadOffsetA+0], s[sgprSrdA:sgprSrdA+3], s[sgprScalarGlobalReadOffsetA+6], offen offset:0 // G -> Reg 1_0_3_0
v_add_f64 v[212:213], -v[vgprValuA_X0_I0+60+0+0+2:vgprValuA_X0_I0+60+0+0+2+1], 0 // Ai=-Ai
v_mfma_f64_4x4x4f64 a[30+0:31+0], v[vgprValuB_X0_I0+0+0+0:vgprValuB_X0_I0+0+0+0+1], v[vgprValuA_X0_I0+60+0+0:vgprValuA_X0_I0+60+0+0+1], a[30:31]
 // Cr += Ar*Br
/*  mfmaIndex:61  */
v_mfma_f64_4x4x4f64 a[62+0:63+0], v[vgprValuB_X0_I0+0+0+0:vgprValuB_X0_I0+0+0+0+1], v[vgprValuA_X0_I0+60+0+0+2:vgprValuA_X0_I0+60+0+0+2+1], a[62:63]
 // Ci += Ai*Br
/*  mfmaIndex:62  */
v_mfma_f64_4x4x4f64 a[30+0:31+0], v[vgprValuB_X0_I0+0+0+0+2:vgprValuB_X0_I0+0+0+0+2+1], v[212:213], a[30:31]
 // Cr += -Ai*Bi
/*  mfmaIndex:63  */
/* sched write - iter 0 writesPerItem=1 */
s_waitcnt vmcnt(0)                                 // lgkmcnt=-1 vmcnt=0wait for global read before writing to local
_ds_store_b128 v[vgprLocalWriteAddrA], v[vgprG2LA+32:vgprG2LA+32+3] offset:8192 // lwoA_0_0_4_0 = (0*LSCA) + (4*LSPA)(*MT0I+PAD) = 8192

/* local read swap offsets a */

/* local read swap offsets b */

/* local read init pointers a */

/* localReadInitPointers */

/* local read init pointers b */

/* localReadInitPointers */
v_mfma_f64_4x4x4f64 a[62+0:63+0], v[vgprValuB_X0_I0+0+0+0+2:vgprValuB_X0_I0+0+0+0+2+1], v[vgprValuA_X0_I0+60+0+0:vgprValuA_X0_I0+60+0+0+1], a[62:63]
 // Ci += Ar*Bi
/* numPrefetchIter=0 */
/* dataAtIterA=-1 numReadsIterA=1 skipReadsIterA=1 readsPerIterA=16 */
/* dataAtIterB=-1 numReadsIterB=1 skipReadsIterB=1 readsPerIterB=1 */


/* iter 1 (swap and reset local write pointers iteration)  */

/*  grEndMfmaIndex:12, lwStartMfmaIndex:38, lwEndMfmaIndex:89  */
/*  numMfmaForLR:36, barrierMfmaIndex:91, LocalWritePerMfma:0.320 */
/*  mfmaIndex:64  */
_buffer_load_b128 v[vgprG2LA+32:vgprG2LA+32+3], v[vgprGlobalReadOffsetA+0], s[sgprSrdA:sgprSrdA+3], s[sgprScalarGlobalReadOffsetA+7], offen offset:0 // G -> Reg 0_0_4_0
v_add_f64 v[212:213], -v[vgprValuA_X1_I0+0+0+0+2:vgprValuA_X1_I0+0+0+0+2+1], 0 // Ai=-Ai
v_mfma_f64_4x4x4f64 a[0+0:1+0], v[vgprValuB_X1_I0+0+0+0:vgprValuB_X1_I0+0+0+0+1], v[vgprValuA_X1_I0+0+0+0:vgprValuA_X1_I0+0+0+0+1], a[0:1]
 // Cr += Ar*Br
/*  mfmaIndex:65  */
v_mfma_f64_4x4x4f64 a[32+0:33+0], v[vgprValuB_X1_I0+0+0+0:vgprValuB_X1_I0+0+0+0+1], v[vgprValuA_X1_I0+0+0+0+2:vgprValuA_X1_I0+0+0+0+2+1], a[32:33]
 // Ci += Ai*Br
/*  mfmaIndex:66  */
/* sched write - iter 1 writesPerItem=1 */
s_waitcnt vmcnt(0)                                 // lgkmcnt=-1 vmcnt=0wait for global read before writing to local
_ds_store_b128 v[vgprLocalWriteAddrA], v[vgprG2LA+36:vgprG2LA+36+3] offset:9216 // lwoA_1_0_4_0 = (1*LSCA) + (4*LSPA)(*MT0I+PAD) = 9216
v_mfma_f64_4x4x4f64 a[0+0:1+0], v[vgprValuB_X1_I0+0+0+0+2:vgprValuB_X1_I0+0+0+0+2+1], v[212:213], a[0:1]
 // Cr += -Ai*Bi
/*  mfmaIndex:67  */
_buffer_load_b128 v[vgprG2LA+36:vgprG2LA+36+3], v[vgprGlobalReadOffsetA+0], s[sgprSrdA:sgprSrdA+3], s[sgprScalarGlobalReadOffsetA+8], offen offset:0 // G -> Reg 1_0_4_0
v_mfma_f64_4x4x4f64 a[32+0:33+0], v[vgprValuB_X1_I0+0+0+0+2:vgprValuB_X1_I0+0+0+0+2+1], v[vgprValuA_X1_I0+0+0+0:vgprValuA_X1_I0+0+0+0+1], a[32:33]
 // Ci += Ar*Bi
/*  mfmaIndex:68  */
v_add_f64 v[212:213], -v[vgprValuA_X1_I0+4+0+0+2:vgprValuA_X1_I0+4+0+0+2+1], 0 // Ai=-Ai
v_mfma_f64_4x4x4f64 a[2+0:3+0], v[vgprValuB_X1_I0+0+0+0:vgprValuB_X1_I0+0+0+0+1], v[vgprValuA_X1_I0+4+0+0:vgprValuA_X1_I0+4+0+0+1], a[2:3]
 // Cr += Ar*Br
/*  mfmaIndex:69  */
/* sched write - iter 1 writesPerItem=1 */
s_waitcnt vmcnt(0)                                 // lgkmcnt=-1 vmcnt=0wait for global read before writing to local
_ds_store_b128 v[vgprLocalWriteAddrA], v[vgprG2LA+40:vgprG2LA+40+3] offset:10240 // lwoA_0_0_5_0 = (0*LSCA) + (5*LSPA)(*MT0I+PAD) = 10240
v_mfma_f64_4x4x4f64 a[34+0:35+0], v[vgprValuB_X1_I0+0+0+0:vgprValuB_X1_I0+0+0+0+1], v[vgprValuA_X1_I0+4+0+0+2:vgprValuA_X1_I0+4+0+0+2+1], a[34:35]
 // Ci += Ai*Br
/*  mfmaIndex:70  */
_buffer_load_b128 v[vgprG2LA+40:vgprG2LA+40+3], v[vgprGlobalReadOffsetA+0], s[sgprSrdA:sgprSrdA+3], s[sgprScalarGlobalReadOffsetA+9], offen offset:0 // G -> Reg 0_0_5_0
v_mfma_f64_4x4x4f64 a[2+0:3+0], v[vgprValuB_X1_I0+0+0+0+2:vgprValuB_X1_I0+0+0+0+2+1], v[212:213], a[2:3]
 // Cr += -Ai*Bi
/*  mfmaIndex:71  */
v_mfma_f64_4x4x4f64 a[34+0:35+0], v[vgprValuB_X1_I0+0+0+0+2:vgprValuB_X1_I0+0+0+0+2+1], v[vgprValuA_X1_I0+4+0+0:vgprValuA_X1_I0+4+0+0+1], a[34:35]
 // Ci += Ar*Bi
/*  mfmaIndex:72  */
/* sched write - iter 1 writesPerItem=1 */
s_waitcnt vmcnt(0)                                 // lgkmcnt=-1 vmcnt=0wait for global read before writing to local
_ds_store_b128 v[vgprLocalWriteAddrA], v[vgprG2LA+44:vgprG2LA+44+3] offset:11264 // lwoA_1_0_5_0 = (1*LSCA) + (5*LSPA)(*MT0I+PAD) = 11264
v_add_f64 v[212:213], -v[vgprValuA_X1_I0+8+0+0+2:vgprValuA_X1_I0+8+0+0+2+1], 0 // Ai=-Ai
v_mfma_f64_4x4x4f64 a[4+0:5+0], v[vgprValuB_X1_I0+0+0+0:vgprValuB_X1_I0+0+0+0+1], v[vgprValuA_X1_I0+8+0+0:vgprValuA_X1_I0+8+0+0+1], a[4:5]
 // Cr += Ar*Br
/*  mfmaIndex:73  */
_buffer_load_b128 v[vgprG2LA+44:vgprG2LA+44+3], v[vgprGlobalReadOffsetA+0], s[sgprSrdA:sgprSrdA+3], s[sgprScalarGlobalReadOffsetA+10], offen offset:0 // G -> Reg 1_0_5_0
v_mfma_f64_4x4x4f64 a[36+0:37+0], v[vgprValuB_X1_I0+0+0+0:vgprValuB_X1_I0+0+0+0+1], v[vgprValuA_X1_I0+8+0+0+2:vgprValuA_X1_I0+8+0+0+2+1], a[36:37]
 // Ci += Ai*Br
/*  mfmaIndex:74  */
v_mfma_f64_4x4x4f64 a[4+0:5+0], v[vgprValuB_X1_I0+0+0+0+2:vgprValuB_X1_I0+0+0+0+2+1], v[212:213], a[4:5]
 // Cr += -Ai*Bi
/*  mfmaIndex:75  */
/* sched write - iter 1 writesPerItem=1 */
s_waitcnt vmcnt(0)                                 // lgkmcnt=-1 vmcnt=0wait for global read before writing to local
_ds_store_b128 v[vgprLocalWriteAddrA], v[vgprG2LA+48:vgprG2LA+48+3] offset:12288 // lwoA_0_0_6_0 = (0*LSCA) + (6*LSPA)(*MT0I+PAD) = 12288
v_mfma_f64_4x4x4f64 a[36+0:37+0], v[vgprValuB_X1_I0+0+0+0+2:vgprValuB_X1_I0+0+0+0+2+1], v[vgprValuA_X1_I0+8+0+0:vgprValuA_X1_I0+8+0+0+1], a[36:37]
 // Ci += Ar*Bi
/*  mfmaIndex:76  */
_buffer_load_b128 v[vgprG2LA+48:vgprG2LA+48+3], v[vgprGlobalReadOffsetA+0], s[sgprSrdA:sgprSrdA+3], s[sgprScalarGlobalReadOffsetA+11], offen offset:0 // G -> Reg 0_0_6_0
v_add_f64 v[212:213], -v[vgprValuA_X1_I0+12+0+0+2:vgprValuA_X1_I0+12+0+0+2+1], 0 // Ai=-Ai
v_mfma_f64_4x4x4f64 a[6+0:7+0], v[vgprValuB_X1_I0+0+0+0:vgprValuB_X1_I0+0+0+0+1], v[vgprValuA_X1_I0+12+0+0:vgprValuA_X1_I0+12+0+0+1], a[6:7]
 // Cr += Ar*Br
/*  mfmaIndex:77  */
v_mfma_f64_4x4x4f64 a[38+0:39+0], v[vgprValuB_X1_I0+0+0+0:vgprValuB_X1_I0+0+0+0+1], v[vgprValuA_X1_I0+12+0+0+2:vgprValuA_X1_I0+12+0+0+2+1], a[38:39]
 // Ci += Ai*Br
/*  mfmaIndex:78  */
/* sched write - iter 1 writesPerItem=1 */
s_waitcnt vmcnt(0)                                 // lgkmcnt=-1 vmcnt=0wait for global read before writing to local
_ds_store_b128 v[vgprLocalWriteAddrA], v[vgprG2LA+52:vgprG2LA+52+3] offset:13312 // lwoA_1_0_6_0 = (1*LSCA) + (6*LSPA)(*MT0I+PAD) = 13312
v_mfma_f64_4x4x4f64 a[6+0:7+0], v[vgprValuB_X1_I0+0+0+0+2:vgprValuB_X1_I0+0+0+0+2+1], v[212:213], a[6:7]
 // Cr += -Ai*Bi
/*  mfmaIndex:79  */
_buffer_load_b128 v[vgprG2LA+52:vgprG2LA+52+3], v[vgprGlobalReadOffsetA+0], s[sgprSrdA:sgprSrdA+3], s[sgprScalarGlobalReadOffsetA+12], offen offset:0 // G -> Reg 1_0_6_0
v_mfma_f64_4x4x4f64 a[38+0:39+0], v[vgprValuB_X1_I0+0+0+0+2:vgprValuB_X1_I0+0+0+0+2+1], v[vgprValuA_X1_I0+12+0+0:vgprValuA_X1_I0+12+0+0+1], a[38:39]
 // Ci += Ar*Bi
/*  mfmaIndex:80  */
v_add_f64 v[212:213], -v[vgprValuA_X1_I0+16+0+0+2:vgprValuA_X1_I0+16+0+0+2+1], 0 // Ai=-Ai
v_mfma_f64_4x4x4f64 a[8+0:9+0], v[vgprValuB_X1_I0+0+0+0:vgprValuB_X1_I0+0+0+0+1], v[vgprValuA_X1_I0+16+0+0:vgprValuA_X1_I0+16+0+0+1], a[8:9]
 // Cr += Ar*Br
/*  mfmaIndex:81  */
/* sched write - iter 1 writesPerItem=1 */
s_waitcnt vmcnt(0)                                 // lgkmcnt=-1 vmcnt=0wait for global read before writing to local
_ds_store_b128 v[vgprLocalWriteAddrA], v[vgprG2LA+56:vgprG2LA+56+3] offset:14336 // lwoA_0_0_7_0 = (0*LSCA) + (7*LSPA)(*MT0I+PAD) = 14336
v_mfma_f64_4x4x4f64 a[40+0:41+0], v[vgprValuB_X1_I0+0+0+0:vgprValuB_X1_I0+0+0+0+1], v[vgprValuA_X1_I0+16+0+0+2:vgprValuA_X1_I0+16+0+0+2+1], a[40:41]
 // Ci += Ai*Br
/*  mfmaIndex:82  */
_buffer_load_b128 v[vgprG2LA+56:vgprG2LA+56+3], v[vgprGlobalReadOffsetA+0], s[sgprSrdA:sgprSrdA+3], s[sgprScalarGlobalReadOffsetA+13], offen offset:0 // G -> Reg 0_0_7_0
v_mfma_f64_4x4x4f64 a[8+0:9+0], v[vgprValuB_X1_I0+0+0+0+2:vgprValuB_X1_I0+0+0+0+2+1], v[212:213], a[8:9]
 // Cr += -Ai*Bi
/*  mfmaIndex:83  */
v_mfma_f64_4x4x4f64 a[40+0:41+0], v[vgprValuB_X1_I0+0+0+0+2:vgprValuB_X1_I0+0+0+0+2+1], v[vgprValuA_X1_I0+16+0+0:vgprValuA_X1_I0+16+0+0+1], a[40:41]
 // Ci += Ar*Bi
/*  mfmaIndex:84  */
/* sched write - iter 1 writesPerItem=1 */
s_waitcnt vmcnt(0)                                 // lgkmcnt=-1 vmcnt=0wait for global read before writing to local
_ds_store_b128 v[vgprLocalWriteAddrA], v[vgprG2LA+60:vgprG2LA+60+3] offset:15360 // lwoA_1_0_7_0 = (1*LSCA) + (7*LSPA)(*MT0I+PAD) = 15360
v_add_f64 v[212:213], -v[vgprValuA_X1_I0+20+0+0+2:vgprValuA_X1_I0+20+0+0+2+1], 0 // Ai=-Ai
v_mfma_f64_4x4x4f64 a[10+0:11+0], v[vgprValuB_X1_I0+0+0+0:vgprValuB_X1_I0+0+0+0+1], v[vgprValuA_X1_I0+20+0+0:vgprValuA_X1_I0+20+0+0+1], a[10:11]
 // Cr += Ar*Br
/*  mfmaIndex:85  */
_buffer_load_b128 v[vgprG2LA+60:vgprG2LA+60+3], v[vgprGlobalReadOffsetA+0], s[sgprSrdA:sgprSrdA+3], s[sgprScalarGlobalReadOffsetA+14], offen offset:0 // G -> Reg 1_0_7_0
v_mfma_f64_4x4x4f64 a[42+0:43+0], v[vgprValuB_X1_I0+0+0+0:vgprValuB_X1_I0+0+0+0+1], v[vgprValuA_X1_I0+20+0+0+2:vgprValuA_X1_I0+20+0+0+2+1], a[42:43]
 // Ci += Ai*Br
/*  mfmaIndex:86  */
v_mfma_f64_4x4x4f64 a[10+0:11+0], v[vgprValuB_X1_I0+0+0+0+2:vgprValuB_X1_I0+0+0+0+2+1], v[212:213], a[10:11]
 // Cr += -Ai*Bi
/*  mfmaIndex:87  */
v_mfma_f64_4x4x4f64 a[42+0:43+0], v[vgprValuB_X1_I0+0+0+0+2:vgprValuB_X1_I0+0+0+0+2+1], v[vgprValuA_X1_I0+20+0+0:vgprValuA_X1_I0+20+0+0+1], a[42:43]
 // Ci += Ar*Bi
/*  mfmaIndex:88  */
/* sched write - iter 1 writesPerItem=1 */
s_waitcnt vmcnt(0)                                 // lgkmcnt=-1 vmcnt=0wait for global read before writing to local
_ds_store_b128 v[vgprLocalWriteAddrB], v[vgprG2LB+0:vgprG2LB+0+3] offset:0 // lwoB_0_0_0_0 = (0*LSCB)*(MT1J+PAD) + (0*LSPB) = 0
v_add_f64 v[212:213], -v[vgprValuA_X1_I0+24+0+0+2:vgprValuA_X1_I0+24+0+0+2+1], 0 // Ai=-Ai
v_mfma_f64_4x4x4f64 a[12+0:13+0], v[vgprValuB_X1_I0+0+0+0:vgprValuB_X1_I0+0+0+0+1], v[vgprValuA_X1_I0+24+0+0:vgprValuA_X1_I0+24+0+0+1], a[12:13]
 // Cr += Ar*Br
/*  mfmaIndex:89  */
_buffer_load_b128 v[vgprG2LB+0:vgprG2LB+0+3], v[vgprGlobalReadOffsetB+0], s[sgprSrdB:sgprSrdB+3], 0, offen offset:0 // G -> Reg 0_0_0_0

/* local write swap offsets a */

/* local write swap offsets b */
v_mfma_f64_4x4x4f64 a[44+0:45+0], v[vgprValuB_X1_I0+0+0+0:vgprValuB_X1_I0+0+0+0+1], v[vgprValuA_X1_I0+24+0+0+2:vgprValuA_X1_I0+24+0+0+2+1], a[44:45]
 // Ci += Ai*Br
/*  mfmaIndex:90  */
v_mfma_f64_4x4x4f64 a[12+0:13+0], v[vgprValuB_X1_I0+0+0+0+2:vgprValuB_X1_I0+0+0+0+2+1], v[212:213], a[12:13]
 // Cr += -Ai*Bi
/*  mfmaIndex:91  */
s_waitcnt lgkmcnt(0)                               // lgkmcnt=0 vmcnt=-13wait for local write
// Skip barrier: NumThreads=64
v_mfma_f64_4x4x4f64 a[44+0:45+0], v[vgprValuB_X1_I0+0+0+0+2:vgprValuB_X1_I0+0+0+0+2+1], v[vgprValuA_X1_I0+24+0+0:vgprValuA_X1_I0+24+0+0+1], a[44:45]
 // Ci += Ar*Bi
/*  mfmaIndex:92  */
_ds_load_b128 v[vgprValuA_X0_I0+0:vgprValuA_X0_I0+0+3], v[vgprLocalReadAddrA] offset:0 // L -> Reg lro=0 swapByteOffset=0 ti=8 vIdx=0 rIdx=0 oIdx=0 buffer=0 iui=0
v_add_f64 v[212:213], -v[vgprValuA_X1_I0+28+0+0+2:vgprValuA_X1_I0+28+0+0+2+1], 0 // Ai=-Ai
v_mfma_f64_4x4x4f64 a[14+0:15+0], v[vgprValuB_X1_I0+0+0+0:vgprValuB_X1_I0+0+0+0+1], v[vgprValuA_X1_I0+28+0+0:vgprValuA_X1_I0+28+0+0+1], a[14:15]
 // Cr += Ar*Br
/*  mfmaIndex:93  */
_ds_load_b128 v[vgprValuB_X0_I0+0:vgprValuB_X0_I0+0+3], v[vgprLocalReadAddrB] offset:0 // L -> Reg lro=0 swapByteOffset=0 ti=8 vIdx=0 rIdx=0 oIdx=0 buffer=0 iui=0
v_mfma_f64_4x4x4f64 a[46+0:47+0], v[vgprValuB_X1_I0+0+0+0:vgprValuB_X1_I0+0+0+0+1], v[vgprValuA_X1_I0+28+0+0+2:vgprValuA_X1_I0+28+0+0+2+1], a[46:47]
 // Ci += Ai*Br
/*  mfmaIndex:94  */
_ds_load_b128 v[vgprValuA_X0_I0+4:vgprValuA_X0_I0+4+3], v[vgprLocalReadAddrA] offset:128 // L -> Reg lro=0 swapByteOffset=0 ti=8 vIdx=1 rIdx=0 oIdx=0 buffer=0 iui=0
v_mfma_f64_4x4x4f64 a[14+0:15+0], v[vgprValuB_X1_I0+0+0+0+2:vgprValuB_X1_I0+0+0+0+2+1], v[212:213], a[14:15]
 // Cr += -Ai*Bi
/*  mfmaIndex:95  */
_ds_load_b128 v[vgprValuA_X0_I0+8:vgprValuA_X0_I0+8+3], v[vgprLocalReadAddrA] offset:256 // L -> Reg lro=0 swapByteOffset=0 ti=8 vIdx=2 rIdx=0 oIdx=0 buffer=0 iui=0
v_mfma_f64_4x4x4f64 a[46+0:47+0], v[vgprValuB_X1_I0+0+0+0+2:vgprValuB_X1_I0+0+0+0+2+1], v[vgprValuA_X1_I0+28+0+0:vgprValuA_X1_I0+28+0+0+1], a[46:47]
 // Ci += Ar*Bi
/*  mfmaIndex:96  */
_ds_load_b128 v[vgprValuA_X0_I0+12:vgprValuA_X0_I0+12+3], v[vgprLocalReadAddrA] offset:384 // L -> Reg lro=0 swapByteOffset=0 ti=8 vIdx=3 rIdx=0 oIdx=0 buffer=0 iui=0
v_add_f64 v[212:213], -v[vgprValuA_X1_I0+32+0+0+2:vgprValuA_X1_I0+32+0+0+2+1], 0 // Ai=-Ai
v_mfma_f64_4x4x4f64 a[16+0:17+0], v[vgprValuB_X1_I0+0+0+0:vgprValuB_X1_I0+0+0+0+1], v[vgprValuA_X1_I0+32+0+0:vgprValuA_X1_I0+32+0+0+1], a[16:17]
 // Cr += Ar*Br
/*  mfmaIndex:97  */
_ds_load_b128 v[vgprValuA_X0_I0+16:vgprValuA_X0_I0+16+3], v[vgprLocalReadAddrA] offset:512 // L -> Reg lro=0 swapByteOffset=0 ti=8 vIdx=4 rIdx=0 oIdx=0 buffer=0 iui=0
v_mfma_f64_4x4x4f64 a[48+0:49+0], v[vgprValuB_X1_I0+0+0+0:vgprValuB_X1_I0+0+0+0+1], v[vgprValuA_X1_I0+32+0+0+2:vgprValuA_X1_I0+32+0+0+2+1], a[48:49]
 // Ci += Ai*Br
/*  mfmaIndex:98  */
_ds_load_b128 v[vgprValuA_X0_I0+20:vgprValuA_X0_I0+20+3], v[vgprLocalReadAddrA] offset:640 // L -> Reg lro=0 swapByteOffset=0 ti=8 vIdx=5 rIdx=0 oIdx=0 buffer=0 iui=0
v_mfma_f64_4x4x4f64 a[16+0:17+0], v[vgprValuB_X1_I0+0+0+0+2:vgprValuB_X1_I0+0+0+0+2+1], v[212:213], a[16:17]
 // Cr += -Ai*Bi
/*  mfmaIndex:99  */
_ds_load_b128 v[vgprValuA_X0_I0+24:vgprValuA_X0_I0+24+3], v[vgprLocalReadAddrA] offset:768 // L -> Reg lro=0 swapByteOffset=0 ti=8 vIdx=6 rIdx=0 oIdx=0 buffer=0 iui=0
v_mfma_f64_4x4x4f64 a[48+0:49+0], v[vgprValuB_X1_I0+0+0+0+2:vgprValuB_X1_I0+0+0+0+2+1], v[vgprValuA_X1_I0+32+0+0:vgprValuA_X1_I0+32+0+0+1], a[48:49]
 // Ci += Ar*Bi
/*  mfmaIndex:100  */
_ds_load_b128 v[vgprValuA_X0_I0+28:vgprValuA_X0_I0+28+3], v[vgprLocalReadAddrA] offset:896 // L -> Reg lro=0 swapByteOffset=0 ti=8 vIdx=7 rIdx=0 oIdx=0 buffer=0 iui=0
v_add_f64 v[212:213], -v[vgprValuA_X1_I0+36+0+0+2:vgprValuA_X1_I0+36+0+0+2+1], 0 // Ai=-Ai
v_mfma_f64_4x4x4f64 a[18+0:19+0], v[vgprValuB_X1_I0+0+0+0:vgprValuB_X1_I0+0+0+0+1], v[vgprValuA_X1_I0+36+0+0:vgprValuA_X1_I0+36+0+0+1], a[18:19]
 // Cr += Ar*Br
/*  mfmaIndex:101  */
_ds_load_b128 v[vgprValuA_X0_I0+32:vgprValuA_X0_I0+32+3], v[vgprLocalReadAddrA] offset:1024 // L -> Reg lro=0 swapByteOffset=0 ti=8 vIdx=8 rIdx=0 oIdx=0 buffer=0 iui=0
	;; [unrolled: 17-line block ×3, first 2 shown]
v_mfma_f64_4x4x4f64 a[52+0:53+0], v[vgprValuB_X1_I0+0+0+0:vgprValuB_X1_I0+0+0+0+1], v[vgprValuA_X1_I0+40+0+0+2:vgprValuA_X1_I0+40+0+0+2+1], a[52:53]
 // Ci += Ai*Br
/*  mfmaIndex:106  */
_ds_load_b128 v[vgprValuA_X0_I0+52:vgprValuA_X0_I0+52+3], v[vgprLocalReadAddrA] offset:1664 // L -> Reg lro=0 swapByteOffset=0 ti=8 vIdx=13 rIdx=0 oIdx=0 buffer=0 iui=0
v_mfma_f64_4x4x4f64 a[20+0:21+0], v[vgprValuB_X1_I0+0+0+0+2:vgprValuB_X1_I0+0+0+0+2+1], v[212:213], a[20:21]
 // Cr += -Ai*Bi
/*  mfmaIndex:107  */
_ds_load_b128 v[vgprValuA_X0_I0+56:vgprValuA_X0_I0+56+3], v[vgprLocalReadAddrA] offset:1792 // L -> Reg lro=0 swapByteOffset=0 ti=8 vIdx=14 rIdx=0 oIdx=0 buffer=0 iui=0
v_mfma_f64_4x4x4f64 a[52+0:53+0], v[vgprValuB_X1_I0+0+0+0+2:vgprValuB_X1_I0+0+0+0+2+1], v[vgprValuA_X1_I0+40+0+0:vgprValuA_X1_I0+40+0+0+1], a[52:53]
 // Ci += Ar*Bi
/*  mfmaIndex:108  */
_ds_load_b128 v[vgprValuA_X0_I0+60:vgprValuA_X0_I0+60+3], v[vgprLocalReadAddrA] offset:1920 // L -> Reg lro=0 swapByteOffset=0 ti=8 vIdx=15 rIdx=0 oIdx=0 buffer=0 iui=0
v_add_f64 v[212:213], -v[vgprValuA_X1_I0+44+0+0+2:vgprValuA_X1_I0+44+0+0+2+1], 0 // Ai=-Ai
v_mfma_f64_4x4x4f64 a[22+0:23+0], v[vgprValuB_X1_I0+0+0+0:vgprValuB_X1_I0+0+0+0+1], v[vgprValuA_X1_I0+44+0+0:vgprValuA_X1_I0+44+0+0+1], a[22:23]
 // Cr += Ar*Br
/*  mfmaIndex:109  */
v_mfma_f64_4x4x4f64 a[54+0:55+0], v[vgprValuB_X1_I0+0+0+0:vgprValuB_X1_I0+0+0+0+1], v[vgprValuA_X1_I0+44+0+0+2:vgprValuA_X1_I0+44+0+0+2+1], a[54:55]
 // Ci += Ai*Br
/*  mfmaIndex:110  */
v_mfma_f64_4x4x4f64 a[22+0:23+0], v[vgprValuB_X1_I0+0+0+0+2:vgprValuB_X1_I0+0+0+0+2+1], v[212:213], a[22:23]
 // Cr += -Ai*Bi
/*  mfmaIndex:111  */
v_mfma_f64_4x4x4f64 a[54+0:55+0], v[vgprValuB_X1_I0+0+0+0+2:vgprValuB_X1_I0+0+0+0+2+1], v[vgprValuA_X1_I0+44+0+0:vgprValuA_X1_I0+44+0+0+1], a[54:55]
 // Ci += Ar*Bi
/*  mfmaIndex:112  */
v_add_f64 v[212:213], -v[vgprValuA_X1_I0+48+0+0+2:vgprValuA_X1_I0+48+0+0+2+1], 0 // Ai=-Ai
v_mfma_f64_4x4x4f64 a[24+0:25+0], v[vgprValuB_X1_I0+0+0+0:vgprValuB_X1_I0+0+0+0+1], v[vgprValuA_X1_I0+48+0+0:vgprValuA_X1_I0+48+0+0+1], a[24:25]
 // Cr += Ar*Br
/*  mfmaIndex:113  */
v_mfma_f64_4x4x4f64 a[56+0:57+0], v[vgprValuB_X1_I0+0+0+0:vgprValuB_X1_I0+0+0+0+1], v[vgprValuA_X1_I0+48+0+0+2:vgprValuA_X1_I0+48+0+0+2+1], a[56:57]
 // Ci += Ai*Br
/*  mfmaIndex:114  */
v_mfma_f64_4x4x4f64 a[24+0:25+0], v[vgprValuB_X1_I0+0+0+0+2:vgprValuB_X1_I0+0+0+0+2+1], v[212:213], a[24:25]
 // Cr += -Ai*Bi
/*  mfmaIndex:115  */
v_mfma_f64_4x4x4f64 a[56+0:57+0], v[vgprValuB_X1_I0+0+0+0+2:vgprValuB_X1_I0+0+0+0+2+1], v[vgprValuA_X1_I0+48+0+0:vgprValuA_X1_I0+48+0+0+1], a[56:57]
 // Ci += Ar*Bi
/*  mfmaIndex:116  */
v_add_f64 v[212:213], -v[vgprValuA_X1_I0+52+0+0+2:vgprValuA_X1_I0+52+0+0+2+1], 0 // Ai=-Ai
v_mfma_f64_4x4x4f64 a[26+0:27+0], v[vgprValuB_X1_I0+0+0+0:vgprValuB_X1_I0+0+0+0+1], v[vgprValuA_X1_I0+52+0+0:vgprValuA_X1_I0+52+0+0+1], a[26:27]
 // Cr += Ar*Br
/*  mfmaIndex:117  */
v_mfma_f64_4x4x4f64 a[58+0:59+0], v[vgprValuB_X1_I0+0+0+0:vgprValuB_X1_I0+0+0+0+1], v[vgprValuA_X1_I0+52+0+0+2:vgprValuA_X1_I0+52+0+0+2+1], a[58:59]
 // Ci += Ai*Br
/*  mfmaIndex:118  */
v_mfma_f64_4x4x4f64 a[26+0:27+0], v[vgprValuB_X1_I0+0+0+0+2:vgprValuB_X1_I0+0+0+0+2+1], v[212:213], a[26:27]
 // Cr += -Ai*Bi
/*  mfmaIndex:119  */
v_mfma_f64_4x4x4f64 a[58+0:59+0], v[vgprValuB_X1_I0+0+0+0+2:vgprValuB_X1_I0+0+0+0+2+1], v[vgprValuA_X1_I0+52+0+0:vgprValuA_X1_I0+52+0+0+1], a[58:59]
 // Ci += Ar*Bi
/*  mfmaIndex:120  */
v_add_f64 v[212:213], -v[vgprValuA_X1_I0+56+0+0+2:vgprValuA_X1_I0+56+0+0+2+1], 0 // Ai=-Ai
v_mfma_f64_4x4x4f64 a[28+0:29+0], v[vgprValuB_X1_I0+0+0+0:vgprValuB_X1_I0+0+0+0+1], v[vgprValuA_X1_I0+56+0+0:vgprValuA_X1_I0+56+0+0+1], a[28:29]
 // Cr += Ar*Br
/*  mfmaIndex:121  */
v_mfma_f64_4x4x4f64 a[60+0:61+0], v[vgprValuB_X1_I0+0+0+0:vgprValuB_X1_I0+0+0+0+1], v[vgprValuA_X1_I0+56+0+0+2:vgprValuA_X1_I0+56+0+0+2+1], a[60:61]
 // Ci += Ai*Br
/*  mfmaIndex:122  */
v_mfma_f64_4x4x4f64 a[28+0:29+0], v[vgprValuB_X1_I0+0+0+0+2:vgprValuB_X1_I0+0+0+0+2+1], v[212:213], a[28:29]
 // Cr += -Ai*Bi
/*  mfmaIndex:123  */
v_mfma_f64_4x4x4f64 a[60+0:61+0], v[vgprValuB_X1_I0+0+0+0+2:vgprValuB_X1_I0+0+0+0+2+1], v[vgprValuA_X1_I0+56+0+0:vgprValuA_X1_I0+56+0+0+1], a[60:61]
 // Ci += Ar*Bi
/*  mfmaIndex:124  */
v_add_f64 v[212:213], -v[vgprValuA_X1_I0+60+0+0+2:vgprValuA_X1_I0+60+0+0+2+1], 0 // Ai=-Ai
v_mfma_f64_4x4x4f64 a[30+0:31+0], v[vgprValuB_X1_I0+0+0+0:vgprValuB_X1_I0+0+0+0+1], v[vgprValuA_X1_I0+60+0+0:vgprValuA_X1_I0+60+0+0+1], a[30:31]
 // Cr += Ar*Br
/*  mfmaIndex:125  */
v_mfma_f64_4x4x4f64 a[62+0:63+0], v[vgprValuB_X1_I0+0+0+0:vgprValuB_X1_I0+0+0+0+1], v[vgprValuA_X1_I0+60+0+0+2:vgprValuA_X1_I0+60+0+0+2+1], a[62:63]
 // Ci += Ai*Br
/*  mfmaIndex:126  */
v_mfma_f64_4x4x4f64 a[30+0:31+0], v[vgprValuB_X1_I0+0+0+0+2:vgprValuB_X1_I0+0+0+0+2+1], v[212:213], a[30:31]
 // Cr += -Ai*Bi
/*  mfmaIndex:127  */
v_mfma_f64_4x4x4f64 a[62+0:63+0], v[vgprValuB_X1_I0+0+0+0+2:vgprValuB_X1_I0+0+0+0+2+1], v[vgprValuA_X1_I0+60+0+0:vgprValuA_X1_I0+60+0+0+1], a[62:63]
 // Ci += Ar*Bi


/******************************************/
/* Unrolled Loop - End 1/2                */
/******************************************/


/* closeLoop loopL finalLoop=0 tailLoop=0 */
s_sub_u32 s[sgprLoopCounterL], s[sgprLoopCounterL], 1 // dec counterL
s_cmp_eq_i32 s[sgprLoopCounterL], 0x2              // counterL==2
s_cbranch_scc1 LoopEndL_oddexit_3                  // exit LoopL


/******************************************/
/* Unrolled Loop 2/2 - Begin              */
/******************************************/

label_0016: // LoopCopy2 


/* Begin Each Unroll: Check VGPR.checkin for INT8 LW */


	;; [unrolled: 1-line block ×3, first 2 shown]
/* iter 0 (reset local read pointers iteration)  (swap local read pointers iteration)  */

/*  grEndMfmaIndex:12, lwStartMfmaIndex:38, lwEndMfmaIndex:89  */
/*  numMfmaForLR:36, barrierMfmaIndex:91, LocalWritePerMfma:0.320 */
/*  mfmaIndex:0  */
s_waitcnt lgkmcnt(0)                               // lgkmcnt=0 vmcnt=-1wait for prior local read local write old=0, new=0 newLW=0 newLR=0
v_add_f64 v[212:213], -v[vgprValuA_X0_I0+0+0+0+2:vgprValuA_X0_I0+0+0+0+2+1], 0 // Ai=-Ai
v_mfma_f64_4x4x4f64 a[0+0:1+0], v[vgprValuB_X0_I0+0+0+0:vgprValuB_X0_I0+0+0+0+1], v[vgprValuA_X0_I0+0+0+0:vgprValuA_X0_I0+0+0+0+1], a[0:1]
 // Cr += Ar*Br
/*  mfmaIndex:1  */
_ds_load_b128 v[vgprValuA_X1_I0+0:vgprValuA_X1_I0+0+3], v[vgprLocalReadAddrA] offset:8192 // L -> Reg lro=512 swapByteOffset=0 ti=8 vIdx=0 rIdx=0 oIdx=0 buffer=1 iui=0

/* global read inc A loopL */
s_add_u32 s[sgprSrdA+0], s[sgprSrdA+0], s[sgprGlobalReadIncsA+0] // gra SRD += inc(lower)
v_mfma_f64_4x4x4f64 a[32+0:33+0], v[vgprValuB_X0_I0+0+0+0:vgprValuB_X0_I0+0+0+0+1], v[vgprValuA_X0_I0+0+0+0+2:vgprValuA_X0_I0+0+0+0+2+1], a[32:33]
 // Ci += Ai*Br
/*  mfmaIndex:2  */
_ds_load_b128 v[vgprValuB_X1_I0+0:vgprValuB_X1_I0+0+3], v[vgprLocalReadAddrB] offset:64 // L -> Reg lro=4 swapByteOffset=0 ti=8 vIdx=0 rIdx=0 oIdx=0 buffer=1 iui=0
s_addc_u32  s[sgprSrdA+1], s[sgprSrdA+1], 0        // gra SRD += inc(upper)
v_mfma_f64_4x4x4f64 a[0+0:1+0], v[vgprValuB_X0_I0+0+0+0+2:vgprValuB_X0_I0+0+0+0+2+1], v[212:213], a[0:1]
 // Cr += -Ai*Bi
/*  mfmaIndex:3  */
_ds_load_b128 v[vgprValuA_X1_I0+4:vgprValuA_X1_I0+4+3], v[vgprLocalReadAddrA] offset:8320 // L -> Reg lro=512 swapByteOffset=0 ti=8 vIdx=1 rIdx=0 oIdx=0 buffer=1 iui=0
s_sub_u32 s[sgprShadowLimitA+0], s[sgprShadowLimitA+0], s[sgprGlobalReadIncsA+0] // limit -= inc)
v_mfma_f64_4x4x4f64 a[32+0:33+0], v[vgprValuB_X0_I0+0+0+0+2:vgprValuB_X0_I0+0+0+0+2+1], v[vgprValuA_X0_I0+0+0+0:vgprValuA_X0_I0+0+0+0+1], a[32:33]
 // Ci += Ar*Bi
/*  mfmaIndex:4  */
_ds_load_b128 v[vgprValuA_X1_I0+8:vgprValuA_X1_I0+8+3], v[vgprLocalReadAddrA] offset:8448 // L -> Reg lro=512 swapByteOffset=0 ti=8 vIdx=2 rIdx=0 oIdx=0 buffer=1 iui=0
s_subb_u32 s[sgprShadowLimitA+1], s[sgprShadowLimitA+1], 0 // limit -= inc)
v_add_f64 v[212:213], -v[vgprValuA_X0_I0+4+0+0+2:vgprValuA_X0_I0+4+0+0+2+1], 0 // Ai=-Ai
v_mfma_f64_4x4x4f64 a[2+0:3+0], v[vgprValuB_X0_I0+0+0+0:vgprValuB_X0_I0+0+0+0+1], v[vgprValuA_X0_I0+4+0+0:vgprValuA_X0_I0+4+0+0+1], a[2:3]
 // Cr += Ar*Br
/*  mfmaIndex:5  */
_ds_load_b128 v[vgprValuA_X1_I0+12:vgprValuA_X1_I0+12+3], v[vgprLocalReadAddrA] offset:8576 // L -> Reg lro=512 swapByteOffset=0 ti=8 vIdx=3 rIdx=0 oIdx=0 buffer=1 iui=0
s_cmp_eq_u32 s[sgprShadowLimitA+1], 0              // are we within 2^32?
v_mfma_f64_4x4x4f64 a[34+0:35+0], v[vgprValuB_X0_I0+0+0+0:vgprValuB_X0_I0+0+0+0+1], v[vgprValuA_X0_I0+4+0+0+2:vgprValuA_X0_I0+4+0+0+2+1], a[34:35]
 // Ci += Ai*Br
/*  mfmaIndex:6  */
_ds_load_b128 v[vgprValuA_X1_I0+16:vgprValuA_X1_I0+16+3], v[vgprLocalReadAddrA] offset:8704 // L -> Reg lro=512 swapByteOffset=0 ti=8 vIdx=4 rIdx=0 oIdx=0 buffer=1 iui=0
s_cmov_b32 s[sgprSrdA+2], s[sgprShadowLimitA+0]    // Move shadow to real if we are within 2^32
v_mfma_f64_4x4x4f64 a[2+0:3+0], v[vgprValuB_X0_I0+0+0+0+2:vgprValuB_X0_I0+0+0+0+2+1], v[212:213], a[2:3]
 // Cr += -Ai*Bi
/*  mfmaIndex:7  */
_ds_load_b128 v[vgprValuA_X1_I0+20:vgprValuA_X1_I0+20+3], v[vgprLocalReadAddrA] offset:8832 // L -> Reg lro=512 swapByteOffset=0 ti=8 vIdx=5 rIdx=0 oIdx=0 buffer=1 iui=0

/* global read inc B loopL */
s_add_u32 s[sgprSrdB+0], s[sgprSrdB+0], s[sgprGlobalReadIncsB+0] // gra SRD += inc(lower)
v_mfma_f64_4x4x4f64 a[34+0:35+0], v[vgprValuB_X0_I0+0+0+0+2:vgprValuB_X0_I0+0+0+0+2+1], v[vgprValuA_X0_I0+4+0+0:vgprValuA_X0_I0+4+0+0+1], a[34:35]
 // Ci += Ar*Bi
/*  mfmaIndex:8  */
_ds_load_b128 v[vgprValuA_X1_I0+24:vgprValuA_X1_I0+24+3], v[vgprLocalReadAddrA] offset:8960 // L -> Reg lro=512 swapByteOffset=0 ti=8 vIdx=6 rIdx=0 oIdx=0 buffer=1 iui=0
s_addc_u32  s[sgprSrdB+1], s[sgprSrdB+1], 0        // gra SRD += inc(upper)
v_add_f64 v[212:213], -v[vgprValuA_X0_I0+8+0+0+2:vgprValuA_X0_I0+8+0+0+2+1], 0 // Ai=-Ai
v_mfma_f64_4x4x4f64 a[4+0:5+0], v[vgprValuB_X0_I0+0+0+0:vgprValuB_X0_I0+0+0+0+1], v[vgprValuA_X0_I0+8+0+0:vgprValuA_X0_I0+8+0+0+1], a[4:5]
 // Cr += Ar*Br
/*  mfmaIndex:9  */
_ds_load_b128 v[vgprValuA_X1_I0+28:vgprValuA_X1_I0+28+3], v[vgprLocalReadAddrA] offset:9088 // L -> Reg lro=512 swapByteOffset=0 ti=8 vIdx=7 rIdx=0 oIdx=0 buffer=1 iui=0
s_sub_u32 s[sgprShadowLimitB+0], s[sgprShadowLimitB+0], s[sgprGlobalReadIncsB+0] // limit -= inc)
v_mfma_f64_4x4x4f64 a[36+0:37+0], v[vgprValuB_X0_I0+0+0+0:vgprValuB_X0_I0+0+0+0+1], v[vgprValuA_X0_I0+8+0+0+2:vgprValuA_X0_I0+8+0+0+2+1], a[36:37]
 // Ci += Ai*Br
/*  mfmaIndex:10  */
_ds_load_b128 v[vgprValuA_X1_I0+32:vgprValuA_X1_I0+32+3], v[vgprLocalReadAddrA] offset:9216 // L -> Reg lro=512 swapByteOffset=0 ti=8 vIdx=8 rIdx=0 oIdx=0 buffer=1 iui=0
s_subb_u32 s[sgprShadowLimitB+1], s[sgprShadowLimitB+1], 0 // limit -= inc)
v_mfma_f64_4x4x4f64 a[4+0:5+0], v[vgprValuB_X0_I0+0+0+0+2:vgprValuB_X0_I0+0+0+0+2+1], v[212:213], a[4:5]
 // Cr += -Ai*Bi
/*  mfmaIndex:11  */
_ds_load_b128 v[vgprValuA_X1_I0+36:vgprValuA_X1_I0+36+3], v[vgprLocalReadAddrA] offset:9344 // L -> Reg lro=512 swapByteOffset=0 ti=8 vIdx=9 rIdx=0 oIdx=0 buffer=1 iui=0
s_cmp_eq_u32 s[sgprShadowLimitB+1], 0              // are we within 2^32?
v_mfma_f64_4x4x4f64 a[36+0:37+0], v[vgprValuB_X0_I0+0+0+0+2:vgprValuB_X0_I0+0+0+0+2+1], v[vgprValuA_X0_I0+8+0+0:vgprValuA_X0_I0+8+0+0+1], a[36:37]
 // Ci += Ar*Bi
/*  mfmaIndex:12  */
_ds_load_b128 v[vgprValuA_X1_I0+40:vgprValuA_X1_I0+40+3], v[vgprLocalReadAddrA] offset:9472 // L -> Reg lro=512 swapByteOffset=0 ti=8 vIdx=10 rIdx=0 oIdx=0 buffer=1 iui=0
s_cmov_b32 s[sgprSrdB+2], s[sgprShadowLimitB+0]    // Move shadow to real if we are within 2^32
v_add_f64 v[212:213], -v[vgprValuA_X0_I0+12+0+0+2:vgprValuA_X0_I0+12+0+0+2+1], 0 // Ai=-Ai
v_mfma_f64_4x4x4f64 a[6+0:7+0], v[vgprValuB_X0_I0+0+0+0:vgprValuB_X0_I0+0+0+0+1], v[vgprValuA_X0_I0+12+0+0:vgprValuA_X0_I0+12+0+0+1], a[6:7]
 // Cr += Ar*Br
/*  mfmaIndex:13  */
_ds_load_b128 v[vgprValuA_X1_I0+44:vgprValuA_X1_I0+44+3], v[vgprLocalReadAddrA] offset:9600 // L -> Reg lro=512 swapByteOffset=0 ti=8 vIdx=11 rIdx=0 oIdx=0 buffer=1 iui=0
v_mfma_f64_4x4x4f64 a[38+0:39+0], v[vgprValuB_X0_I0+0+0+0:vgprValuB_X0_I0+0+0+0+1], v[vgprValuA_X0_I0+12+0+0+2:vgprValuA_X0_I0+12+0+0+2+1], a[38:39]
 // Ci += Ai*Br
/*  mfmaIndex:14  */
_ds_load_b128 v[vgprValuA_X1_I0+48:vgprValuA_X1_I0+48+3], v[vgprLocalReadAddrA] offset:9728 // L -> Reg lro=512 swapByteOffset=0 ti=8 vIdx=12 rIdx=0 oIdx=0 buffer=1 iui=0
v_mfma_f64_4x4x4f64 a[6+0:7+0], v[vgprValuB_X0_I0+0+0+0+2:vgprValuB_X0_I0+0+0+0+2+1], v[212:213], a[6:7]
 // Cr += -Ai*Bi
/*  mfmaIndex:15  */
_ds_load_b128 v[vgprValuA_X1_I0+52:vgprValuA_X1_I0+52+3], v[vgprLocalReadAddrA] offset:9856 // L -> Reg lro=512 swapByteOffset=0 ti=8 vIdx=13 rIdx=0 oIdx=0 buffer=1 iui=0
v_mfma_f64_4x4x4f64 a[38+0:39+0], v[vgprValuB_X0_I0+0+0+0+2:vgprValuB_X0_I0+0+0+0+2+1], v[vgprValuA_X0_I0+12+0+0:vgprValuA_X0_I0+12+0+0+1], a[38:39]
 // Ci += Ar*Bi
/*  mfmaIndex:16  */
_ds_load_b128 v[vgprValuA_X1_I0+56:vgprValuA_X1_I0+56+3], v[vgprLocalReadAddrA] offset:9984 // L -> Reg lro=512 swapByteOffset=0 ti=8 vIdx=14 rIdx=0 oIdx=0 buffer=1 iui=0
v_add_f64 v[212:213], -v[vgprValuA_X0_I0+16+0+0+2:vgprValuA_X0_I0+16+0+0+2+1], 0 // Ai=-Ai
v_mfma_f64_4x4x4f64 a[8+0:9+0], v[vgprValuB_X0_I0+0+0+0:vgprValuB_X0_I0+0+0+0+1], v[vgprValuA_X0_I0+16+0+0:vgprValuA_X0_I0+16+0+0+1], a[8:9]
 // Cr += Ar*Br
/*  mfmaIndex:17  */
_ds_load_b128 v[vgprValuA_X1_I0+60:vgprValuA_X1_I0+60+3], v[vgprLocalReadAddrA] offset:10112 // L -> Reg lro=512 swapByteOffset=0 ti=8 vIdx=15 rIdx=0 oIdx=0 buffer=1 iui=0
v_mfma_f64_4x4x4f64 a[40+0:41+0], v[vgprValuB_X0_I0+0+0+0:vgprValuB_X0_I0+0+0+0+1], v[vgprValuA_X0_I0+16+0+0+2:vgprValuA_X0_I0+16+0+0+2+1], a[40:41]
 // Ci += Ai*Br
/*  mfmaIndex:18  */
/* localReadsVacancy: latencyLeft 1 */
v_mfma_f64_4x4x4f64 a[8+0:9+0], v[vgprValuB_X0_I0+0+0+0+2:vgprValuB_X0_I0+0+0+0+2+1], v[212:213], a[8:9]
 // Cr += -Ai*Bi
/*  mfmaIndex:19  */
/* localReadsVacancy: latencyLeft 1 */
v_mfma_f64_4x4x4f64 a[40+0:41+0], v[vgprValuB_X0_I0+0+0+0+2:vgprValuB_X0_I0+0+0+0+2+1], v[vgprValuA_X0_I0+16+0+0:vgprValuA_X0_I0+16+0+0+1], a[40:41]
 // Ci += Ar*Bi
/*  mfmaIndex:20  */
/* localReadsVacancy: latencyLeft 1 */
v_add_f64 v[212:213], -v[vgprValuA_X0_I0+20+0+0+2:vgprValuA_X0_I0+20+0+0+2+1], 0 // Ai=-Ai
v_mfma_f64_4x4x4f64 a[10+0:11+0], v[vgprValuB_X0_I0+0+0+0:vgprValuB_X0_I0+0+0+0+1], v[vgprValuA_X0_I0+20+0+0:vgprValuA_X0_I0+20+0+0+1], a[10:11]
 // Cr += Ar*Br
/*  mfmaIndex:21  */
/* localReadsVacancy: latencyLeft 1 */
v_mfma_f64_4x4x4f64 a[42+0:43+0], v[vgprValuB_X0_I0+0+0+0:vgprValuB_X0_I0+0+0+0+1], v[vgprValuA_X0_I0+20+0+0+2:vgprValuA_X0_I0+20+0+0+2+1], a[42:43]
 // Ci += Ai*Br
/*  mfmaIndex:22  */
/* localReadsVacancy: latencyLeft 1 */
v_mfma_f64_4x4x4f64 a[10+0:11+0], v[vgprValuB_X0_I0+0+0+0+2:vgprValuB_X0_I0+0+0+0+2+1], v[212:213], a[10:11]
 // Cr += -Ai*Bi
/*  mfmaIndex:23  */
/* localReadsVacancy: latencyLeft 1 */
v_mfma_f64_4x4x4f64 a[42+0:43+0], v[vgprValuB_X0_I0+0+0+0+2:vgprValuB_X0_I0+0+0+0+2+1], v[vgprValuA_X0_I0+20+0+0:vgprValuA_X0_I0+20+0+0+1], a[42:43]
 // Ci += Ar*Bi
/*  mfmaIndex:24  */
/* localReadsVacancy: latencyLeft 1 */
v_add_f64 v[212:213], -v[vgprValuA_X0_I0+24+0+0+2:vgprValuA_X0_I0+24+0+0+2+1], 0 // Ai=-Ai
v_mfma_f64_4x4x4f64 a[12+0:13+0], v[vgprValuB_X0_I0+0+0+0:vgprValuB_X0_I0+0+0+0+1], v[vgprValuA_X0_I0+24+0+0:vgprValuA_X0_I0+24+0+0+1], a[12:13]
 // Cr += Ar*Br
/*  mfmaIndex:25  */
/* localReadsVacancy: latencyLeft 1 */
	;; [unrolled: 17-line block ×5, first 2 shown]
/* 1 LDS buffer: read-sync-write */
s_waitcnt lgkmcnt(0)                               // 
s_barrier                                          // 
v_mfma_f64_4x4x4f64 a[50+0:51+0], v[vgprValuB_X0_I0+0+0+0:vgprValuB_X0_I0+0+0+0+1], v[vgprValuA_X0_I0+36+0+0+2:vgprValuA_X0_I0+36+0+0+2+1], a[50:51]
 // Ci += Ai*Br
/*  mfmaIndex:38  */
/* sched write - iter 0 writesPerItem=1 */
s_waitcnt vmcnt(0)                                 // lgkmcnt=-1 vmcnt=0wait for global read before writing to local
_ds_store_b128 v[vgprLocalWriteAddrA], v[vgprG2LA+0:vgprG2LA+0+3] offset:0 // lwoA_0_0_0_0 = (0*LSCA) + (0*LSPA)(*MT0I+PAD) = 0
v_mfma_f64_4x4x4f64 a[18+0:19+0], v[vgprValuB_X0_I0+0+0+0+2:vgprValuB_X0_I0+0+0+0+2+1], v[212:213], a[18:19]
 // Cr += -Ai*Bi
/*  mfmaIndex:39  */
_buffer_load_b128 v[vgprG2LA+0:vgprG2LA+0+3], v[vgprGlobalReadOffsetA+0], s[sgprSrdA:sgprSrdA+3], 0, offen offset:0 // G -> Reg 0_0_0_0
v_mfma_f64_4x4x4f64 a[50+0:51+0], v[vgprValuB_X0_I0+0+0+0+2:vgprValuB_X0_I0+0+0+0+2+1], v[vgprValuA_X0_I0+36+0+0:vgprValuA_X0_I0+36+0+0+1], a[50:51]
 // Ci += Ar*Bi
/*  mfmaIndex:40  */
v_add_f64 v[212:213], -v[vgprValuA_X0_I0+40+0+0+2:vgprValuA_X0_I0+40+0+0+2+1], 0 // Ai=-Ai
v_mfma_f64_4x4x4f64 a[20+0:21+0], v[vgprValuB_X0_I0+0+0+0:vgprValuB_X0_I0+0+0+0+1], v[vgprValuA_X0_I0+40+0+0:vgprValuA_X0_I0+40+0+0+1], a[20:21]
 // Cr += Ar*Br
/*  mfmaIndex:41  */
/* sched write - iter 0 writesPerItem=1 */
s_waitcnt vmcnt(0)                                 // lgkmcnt=-1 vmcnt=0wait for global read before writing to local
_ds_store_b128 v[vgprLocalWriteAddrA], v[vgprG2LA+4:vgprG2LA+4+3] offset:1024 // lwoA_1_0_0_0 = (1*LSCA) + (0*LSPA)(*MT0I+PAD) = 1024
v_mfma_f64_4x4x4f64 a[52+0:53+0], v[vgprValuB_X0_I0+0+0+0:vgprValuB_X0_I0+0+0+0+1], v[vgprValuA_X0_I0+40+0+0+2:vgprValuA_X0_I0+40+0+0+2+1], a[52:53]
 // Ci += Ai*Br
/*  mfmaIndex:42  */
_buffer_load_b128 v[vgprG2LA+4:vgprG2LA+4+3], v[vgprGlobalReadOffsetA+0], s[sgprSrdA:sgprSrdA+3], s[sgprScalarGlobalReadOffsetA+0], offen offset:0 // G -> Reg 1_0_0_0
v_mfma_f64_4x4x4f64 a[20+0:21+0], v[vgprValuB_X0_I0+0+0+0+2:vgprValuB_X0_I0+0+0+0+2+1], v[212:213], a[20:21]
 // Cr += -Ai*Bi
/*  mfmaIndex:43  */
v_mfma_f64_4x4x4f64 a[52+0:53+0], v[vgprValuB_X0_I0+0+0+0+2:vgprValuB_X0_I0+0+0+0+2+1], v[vgprValuA_X0_I0+40+0+0:vgprValuA_X0_I0+40+0+0+1], a[52:53]
 // Ci += Ar*Bi
/*  mfmaIndex:44  */
/* sched write - iter 0 writesPerItem=1 */
s_waitcnt vmcnt(0)                                 // lgkmcnt=-1 vmcnt=0wait for global read before writing to local
_ds_store_b128 v[vgprLocalWriteAddrA], v[vgprG2LA+8:vgprG2LA+8+3] offset:2048 // lwoA_0_0_1_0 = (0*LSCA) + (1*LSPA)(*MT0I+PAD) = 2048
v_add_f64 v[212:213], -v[vgprValuA_X0_I0+44+0+0+2:vgprValuA_X0_I0+44+0+0+2+1], 0 // Ai=-Ai
v_mfma_f64_4x4x4f64 a[22+0:23+0], v[vgprValuB_X0_I0+0+0+0:vgprValuB_X0_I0+0+0+0+1], v[vgprValuA_X0_I0+44+0+0:vgprValuA_X0_I0+44+0+0+1], a[22:23]
 // Cr += Ar*Br
/*  mfmaIndex:45  */
_buffer_load_b128 v[vgprG2LA+8:vgprG2LA+8+3], v[vgprGlobalReadOffsetA+0], s[sgprSrdA:sgprSrdA+3], s[sgprScalarGlobalReadOffsetA+1], offen offset:0 // G -> Reg 0_0_1_0
v_mfma_f64_4x4x4f64 a[54+0:55+0], v[vgprValuB_X0_I0+0+0+0:vgprValuB_X0_I0+0+0+0+1], v[vgprValuA_X0_I0+44+0+0+2:vgprValuA_X0_I0+44+0+0+2+1], a[54:55]
 // Ci += Ai*Br
/*  mfmaIndex:46  */
v_mfma_f64_4x4x4f64 a[22+0:23+0], v[vgprValuB_X0_I0+0+0+0+2:vgprValuB_X0_I0+0+0+0+2+1], v[212:213], a[22:23]
 // Cr += -Ai*Bi
/*  mfmaIndex:47  */
/* sched write - iter 0 writesPerItem=1 */
s_waitcnt vmcnt(0)                                 // lgkmcnt=-1 vmcnt=0wait for global read before writing to local
_ds_store_b128 v[vgprLocalWriteAddrA], v[vgprG2LA+12:vgprG2LA+12+3] offset:3072 // lwoA_1_0_1_0 = (1*LSCA) + (1*LSPA)(*MT0I+PAD) = 3072
v_mfma_f64_4x4x4f64 a[54+0:55+0], v[vgprValuB_X0_I0+0+0+0+2:vgprValuB_X0_I0+0+0+0+2+1], v[vgprValuA_X0_I0+44+0+0:vgprValuA_X0_I0+44+0+0+1], a[54:55]
 // Ci += Ar*Bi
/*  mfmaIndex:48  */
_buffer_load_b128 v[vgprG2LA+12:vgprG2LA+12+3], v[vgprGlobalReadOffsetA+0], s[sgprSrdA:sgprSrdA+3], s[sgprScalarGlobalReadOffsetA+2], offen offset:0 // G -> Reg 1_0_1_0
v_add_f64 v[212:213], -v[vgprValuA_X0_I0+48+0+0+2:vgprValuA_X0_I0+48+0+0+2+1], 0 // Ai=-Ai
v_mfma_f64_4x4x4f64 a[24+0:25+0], v[vgprValuB_X0_I0+0+0+0:vgprValuB_X0_I0+0+0+0+1], v[vgprValuA_X0_I0+48+0+0:vgprValuA_X0_I0+48+0+0+1], a[24:25]
 // Cr += Ar*Br
/*  mfmaIndex:49  */
v_mfma_f64_4x4x4f64 a[56+0:57+0], v[vgprValuB_X0_I0+0+0+0:vgprValuB_X0_I0+0+0+0+1], v[vgprValuA_X0_I0+48+0+0+2:vgprValuA_X0_I0+48+0+0+2+1], a[56:57]
 // Ci += Ai*Br
/*  mfmaIndex:50  */
/* sched write - iter 0 writesPerItem=1 */
s_waitcnt vmcnt(0)                                 // lgkmcnt=-1 vmcnt=0wait for global read before writing to local
_ds_store_b128 v[vgprLocalWriteAddrA], v[vgprG2LA+16:vgprG2LA+16+3] offset:4096 // lwoA_0_0_2_0 = (0*LSCA) + (2*LSPA)(*MT0I+PAD) = 4096
v_mfma_f64_4x4x4f64 a[24+0:25+0], v[vgprValuB_X0_I0+0+0+0+2:vgprValuB_X0_I0+0+0+0+2+1], v[212:213], a[24:25]
 // Cr += -Ai*Bi
/*  mfmaIndex:51  */
_buffer_load_b128 v[vgprG2LA+16:vgprG2LA+16+3], v[vgprGlobalReadOffsetA+0], s[sgprSrdA:sgprSrdA+3], s[sgprScalarGlobalReadOffsetA+3], offen offset:0 // G -> Reg 0_0_2_0
v_mfma_f64_4x4x4f64 a[56+0:57+0], v[vgprValuB_X0_I0+0+0+0+2:vgprValuB_X0_I0+0+0+0+2+1], v[vgprValuA_X0_I0+48+0+0:vgprValuA_X0_I0+48+0+0+1], a[56:57]
 // Ci += Ar*Bi
/*  mfmaIndex:52  */
v_add_f64 v[212:213], -v[vgprValuA_X0_I0+52+0+0+2:vgprValuA_X0_I0+52+0+0+2+1], 0 // Ai=-Ai
v_mfma_f64_4x4x4f64 a[26+0:27+0], v[vgprValuB_X0_I0+0+0+0:vgprValuB_X0_I0+0+0+0+1], v[vgprValuA_X0_I0+52+0+0:vgprValuA_X0_I0+52+0+0+1], a[26:27]
 // Cr += Ar*Br
/*  mfmaIndex:53  */
/* sched write - iter 0 writesPerItem=1 */
s_waitcnt vmcnt(0)                                 // lgkmcnt=-1 vmcnt=0wait for global read before writing to local
_ds_store_b128 v[vgprLocalWriteAddrA], v[vgprG2LA+20:vgprG2LA+20+3] offset:5120 // lwoA_1_0_2_0 = (1*LSCA) + (2*LSPA)(*MT0I+PAD) = 5120
v_mfma_f64_4x4x4f64 a[58+0:59+0], v[vgprValuB_X0_I0+0+0+0:vgprValuB_X0_I0+0+0+0+1], v[vgprValuA_X0_I0+52+0+0+2:vgprValuA_X0_I0+52+0+0+2+1], a[58:59]
 // Ci += Ai*Br
/*  mfmaIndex:54  */
_buffer_load_b128 v[vgprG2LA+20:vgprG2LA+20+3], v[vgprGlobalReadOffsetA+0], s[sgprSrdA:sgprSrdA+3], s[sgprScalarGlobalReadOffsetA+4], offen offset:0 // G -> Reg 1_0_2_0
v_mfma_f64_4x4x4f64 a[26+0:27+0], v[vgprValuB_X0_I0+0+0+0+2:vgprValuB_X0_I0+0+0+0+2+1], v[212:213], a[26:27]
 // Cr += -Ai*Bi
/*  mfmaIndex:55  */
v_mfma_f64_4x4x4f64 a[58+0:59+0], v[vgprValuB_X0_I0+0+0+0+2:vgprValuB_X0_I0+0+0+0+2+1], v[vgprValuA_X0_I0+52+0+0:vgprValuA_X0_I0+52+0+0+1], a[58:59]
 // Ci += Ar*Bi
/*  mfmaIndex:56  */
/* sched write - iter 0 writesPerItem=1 */
s_waitcnt vmcnt(0)                                 // lgkmcnt=-1 vmcnt=0wait for global read before writing to local
_ds_store_b128 v[vgprLocalWriteAddrA], v[vgprG2LA+24:vgprG2LA+24+3] offset:6144 // lwoA_0_0_3_0 = (0*LSCA) + (3*LSPA)(*MT0I+PAD) = 6144
v_add_f64 v[212:213], -v[vgprValuA_X0_I0+56+0+0+2:vgprValuA_X0_I0+56+0+0+2+1], 0 // Ai=-Ai
v_mfma_f64_4x4x4f64 a[28+0:29+0], v[vgprValuB_X0_I0+0+0+0:vgprValuB_X0_I0+0+0+0+1], v[vgprValuA_X0_I0+56+0+0:vgprValuA_X0_I0+56+0+0+1], a[28:29]
 // Cr += Ar*Br
/*  mfmaIndex:57  */
_buffer_load_b128 v[vgprG2LA+24:vgprG2LA+24+3], v[vgprGlobalReadOffsetA+0], s[sgprSrdA:sgprSrdA+3], s[sgprScalarGlobalReadOffsetA+5], offen offset:0 // G -> Reg 0_0_3_0
v_mfma_f64_4x4x4f64 a[60+0:61+0], v[vgprValuB_X0_I0+0+0+0:vgprValuB_X0_I0+0+0+0+1], v[vgprValuA_X0_I0+56+0+0+2:vgprValuA_X0_I0+56+0+0+2+1], a[60:61]
 // Ci += Ai*Br
/*  mfmaIndex:58  */
v_mfma_f64_4x4x4f64 a[28+0:29+0], v[vgprValuB_X0_I0+0+0+0+2:vgprValuB_X0_I0+0+0+0+2+1], v[212:213], a[28:29]
 // Cr += -Ai*Bi
/*  mfmaIndex:59  */
/* sched write - iter 0 writesPerItem=1 */
s_waitcnt vmcnt(0)                                 // lgkmcnt=-1 vmcnt=0wait for global read before writing to local
_ds_store_b128 v[vgprLocalWriteAddrA], v[vgprG2LA+28:vgprG2LA+28+3] offset:7168 // lwoA_1_0_3_0 = (1*LSCA) + (3*LSPA)(*MT0I+PAD) = 7168
v_mfma_f64_4x4x4f64 a[60+0:61+0], v[vgprValuB_X0_I0+0+0+0+2:vgprValuB_X0_I0+0+0+0+2+1], v[vgprValuA_X0_I0+56+0+0:vgprValuA_X0_I0+56+0+0+1], a[60:61]
 // Ci += Ar*Bi
/*  mfmaIndex:60  */
_buffer_load_b128 v[vgprG2LA+28:vgprG2LA+28+3], v[vgprGlobalReadOffsetA+0], s[sgprSrdA:sgprSrdA+3], s[sgprScalarGlobalReadOffsetA+6], offen offset:0 // G -> Reg 1_0_3_0
v_add_f64 v[212:213], -v[vgprValuA_X0_I0+60+0+0+2:vgprValuA_X0_I0+60+0+0+2+1], 0 // Ai=-Ai
v_mfma_f64_4x4x4f64 a[30+0:31+0], v[vgprValuB_X0_I0+0+0+0:vgprValuB_X0_I0+0+0+0+1], v[vgprValuA_X0_I0+60+0+0:vgprValuA_X0_I0+60+0+0+1], a[30:31]
 // Cr += Ar*Br
/*  mfmaIndex:61  */
v_mfma_f64_4x4x4f64 a[62+0:63+0], v[vgprValuB_X0_I0+0+0+0:vgprValuB_X0_I0+0+0+0+1], v[vgprValuA_X0_I0+60+0+0+2:vgprValuA_X0_I0+60+0+0+2+1], a[62:63]
 // Ci += Ai*Br
/*  mfmaIndex:62  */
v_mfma_f64_4x4x4f64 a[30+0:31+0], v[vgprValuB_X0_I0+0+0+0+2:vgprValuB_X0_I0+0+0+0+2+1], v[212:213], a[30:31]
 // Cr += -Ai*Bi
/*  mfmaIndex:63  */
/* sched write - iter 0 writesPerItem=1 */
s_waitcnt vmcnt(0)                                 // lgkmcnt=-1 vmcnt=0wait for global read before writing to local
_ds_store_b128 v[vgprLocalWriteAddrA], v[vgprG2LA+32:vgprG2LA+32+3] offset:8192 // lwoA_0_0_4_0 = (0*LSCA) + (4*LSPA)(*MT0I+PAD) = 8192

/* local read swap offsets a */

/* local read swap offsets b */

/* local read init pointers a */

/* localReadInitPointers */

/* local read init pointers b */

/* localReadInitPointers */
v_mfma_f64_4x4x4f64 a[62+0:63+0], v[vgprValuB_X0_I0+0+0+0+2:vgprValuB_X0_I0+0+0+0+2+1], v[vgprValuA_X0_I0+60+0+0:vgprValuA_X0_I0+60+0+0+1], a[62:63]
 // Ci += Ar*Bi
/* numPrefetchIter=0 */
/* dataAtIterA=-1 numReadsIterA=1 skipReadsIterA=1 readsPerIterA=16 */
/* dataAtIterB=-1 numReadsIterB=1 skipReadsIterB=1 readsPerIterB=1 */


/* iter 1 (swap and reset local write pointers iteration)  */

/*  grEndMfmaIndex:12, lwStartMfmaIndex:38, lwEndMfmaIndex:89  */
/*  numMfmaForLR:36, barrierMfmaIndex:91, LocalWritePerMfma:0.320 */
/*  mfmaIndex:64  */
_buffer_load_b128 v[vgprG2LA+32:vgprG2LA+32+3], v[vgprGlobalReadOffsetA+0], s[sgprSrdA:sgprSrdA+3], s[sgprScalarGlobalReadOffsetA+7], offen offset:0 // G -> Reg 0_0_4_0
v_add_f64 v[212:213], -v[vgprValuA_X1_I0+0+0+0+2:vgprValuA_X1_I0+0+0+0+2+1], 0 // Ai=-Ai
v_mfma_f64_4x4x4f64 a[0+0:1+0], v[vgprValuB_X1_I0+0+0+0:vgprValuB_X1_I0+0+0+0+1], v[vgprValuA_X1_I0+0+0+0:vgprValuA_X1_I0+0+0+0+1], a[0:1]
 // Cr += Ar*Br
/*  mfmaIndex:65  */
v_mfma_f64_4x4x4f64 a[32+0:33+0], v[vgprValuB_X1_I0+0+0+0:vgprValuB_X1_I0+0+0+0+1], v[vgprValuA_X1_I0+0+0+0+2:vgprValuA_X1_I0+0+0+0+2+1], a[32:33]
 // Ci += Ai*Br
/*  mfmaIndex:66  */
/* sched write - iter 1 writesPerItem=1 */
s_waitcnt vmcnt(0)                                 // lgkmcnt=-1 vmcnt=0wait for global read before writing to local
_ds_store_b128 v[vgprLocalWriteAddrA], v[vgprG2LA+36:vgprG2LA+36+3] offset:9216 // lwoA_1_0_4_0 = (1*LSCA) + (4*LSPA)(*MT0I+PAD) = 9216
v_mfma_f64_4x4x4f64 a[0+0:1+0], v[vgprValuB_X1_I0+0+0+0+2:vgprValuB_X1_I0+0+0+0+2+1], v[212:213], a[0:1]
 // Cr += -Ai*Bi
/*  mfmaIndex:67  */
_buffer_load_b128 v[vgprG2LA+36:vgprG2LA+36+3], v[vgprGlobalReadOffsetA+0], s[sgprSrdA:sgprSrdA+3], s[sgprScalarGlobalReadOffsetA+8], offen offset:0 // G -> Reg 1_0_4_0
v_mfma_f64_4x4x4f64 a[32+0:33+0], v[vgprValuB_X1_I0+0+0+0+2:vgprValuB_X1_I0+0+0+0+2+1], v[vgprValuA_X1_I0+0+0+0:vgprValuA_X1_I0+0+0+0+1], a[32:33]
 // Ci += Ar*Bi
/*  mfmaIndex:68  */
v_add_f64 v[212:213], -v[vgprValuA_X1_I0+4+0+0+2:vgprValuA_X1_I0+4+0+0+2+1], 0 // Ai=-Ai
v_mfma_f64_4x4x4f64 a[2+0:3+0], v[vgprValuB_X1_I0+0+0+0:vgprValuB_X1_I0+0+0+0+1], v[vgprValuA_X1_I0+4+0+0:vgprValuA_X1_I0+4+0+0+1], a[2:3]
 // Cr += Ar*Br
/*  mfmaIndex:69  */
/* sched write - iter 1 writesPerItem=1 */
s_waitcnt vmcnt(0)                                 // lgkmcnt=-1 vmcnt=0wait for global read before writing to local
_ds_store_b128 v[vgprLocalWriteAddrA], v[vgprG2LA+40:vgprG2LA+40+3] offset:10240 // lwoA_0_0_5_0 = (0*LSCA) + (5*LSPA)(*MT0I+PAD) = 10240
v_mfma_f64_4x4x4f64 a[34+0:35+0], v[vgprValuB_X1_I0+0+0+0:vgprValuB_X1_I0+0+0+0+1], v[vgprValuA_X1_I0+4+0+0+2:vgprValuA_X1_I0+4+0+0+2+1], a[34:35]
 // Ci += Ai*Br
/*  mfmaIndex:70  */
_buffer_load_b128 v[vgprG2LA+40:vgprG2LA+40+3], v[vgprGlobalReadOffsetA+0], s[sgprSrdA:sgprSrdA+3], s[sgprScalarGlobalReadOffsetA+9], offen offset:0 // G -> Reg 0_0_5_0
v_mfma_f64_4x4x4f64 a[2+0:3+0], v[vgprValuB_X1_I0+0+0+0+2:vgprValuB_X1_I0+0+0+0+2+1], v[212:213], a[2:3]
 // Cr += -Ai*Bi
/*  mfmaIndex:71  */
v_mfma_f64_4x4x4f64 a[34+0:35+0], v[vgprValuB_X1_I0+0+0+0+2:vgprValuB_X1_I0+0+0+0+2+1], v[vgprValuA_X1_I0+4+0+0:vgprValuA_X1_I0+4+0+0+1], a[34:35]
 // Ci += Ar*Bi
/*  mfmaIndex:72  */
/* sched write - iter 1 writesPerItem=1 */
s_waitcnt vmcnt(0)                                 // lgkmcnt=-1 vmcnt=0wait for global read before writing to local
_ds_store_b128 v[vgprLocalWriteAddrA], v[vgprG2LA+44:vgprG2LA+44+3] offset:11264 // lwoA_1_0_5_0 = (1*LSCA) + (5*LSPA)(*MT0I+PAD) = 11264
v_add_f64 v[212:213], -v[vgprValuA_X1_I0+8+0+0+2:vgprValuA_X1_I0+8+0+0+2+1], 0 // Ai=-Ai
v_mfma_f64_4x4x4f64 a[4+0:5+0], v[vgprValuB_X1_I0+0+0+0:vgprValuB_X1_I0+0+0+0+1], v[vgprValuA_X1_I0+8+0+0:vgprValuA_X1_I0+8+0+0+1], a[4:5]
 // Cr += Ar*Br
/*  mfmaIndex:73  */
_buffer_load_b128 v[vgprG2LA+44:vgprG2LA+44+3], v[vgprGlobalReadOffsetA+0], s[sgprSrdA:sgprSrdA+3], s[sgprScalarGlobalReadOffsetA+10], offen offset:0 // G -> Reg 1_0_5_0
v_mfma_f64_4x4x4f64 a[36+0:37+0], v[vgprValuB_X1_I0+0+0+0:vgprValuB_X1_I0+0+0+0+1], v[vgprValuA_X1_I0+8+0+0+2:vgprValuA_X1_I0+8+0+0+2+1], a[36:37]
 // Ci += Ai*Br
/*  mfmaIndex:74  */
v_mfma_f64_4x4x4f64 a[4+0:5+0], v[vgprValuB_X1_I0+0+0+0+2:vgprValuB_X1_I0+0+0+0+2+1], v[212:213], a[4:5]
 // Cr += -Ai*Bi
/*  mfmaIndex:75  */
/* sched write - iter 1 writesPerItem=1 */
s_waitcnt vmcnt(0)                                 // lgkmcnt=-1 vmcnt=0wait for global read before writing to local
_ds_store_b128 v[vgprLocalWriteAddrA], v[vgprG2LA+48:vgprG2LA+48+3] offset:12288 // lwoA_0_0_6_0 = (0*LSCA) + (6*LSPA)(*MT0I+PAD) = 12288
v_mfma_f64_4x4x4f64 a[36+0:37+0], v[vgprValuB_X1_I0+0+0+0+2:vgprValuB_X1_I0+0+0+0+2+1], v[vgprValuA_X1_I0+8+0+0:vgprValuA_X1_I0+8+0+0+1], a[36:37]
 // Ci += Ar*Bi
/*  mfmaIndex:76  */
_buffer_load_b128 v[vgprG2LA+48:vgprG2LA+48+3], v[vgprGlobalReadOffsetA+0], s[sgprSrdA:sgprSrdA+3], s[sgprScalarGlobalReadOffsetA+11], offen offset:0 // G -> Reg 0_0_6_0
v_add_f64 v[212:213], -v[vgprValuA_X1_I0+12+0+0+2:vgprValuA_X1_I0+12+0+0+2+1], 0 // Ai=-Ai
v_mfma_f64_4x4x4f64 a[6+0:7+0], v[vgprValuB_X1_I0+0+0+0:vgprValuB_X1_I0+0+0+0+1], v[vgprValuA_X1_I0+12+0+0:vgprValuA_X1_I0+12+0+0+1], a[6:7]
 // Cr += Ar*Br
/*  mfmaIndex:77  */
v_mfma_f64_4x4x4f64 a[38+0:39+0], v[vgprValuB_X1_I0+0+0+0:vgprValuB_X1_I0+0+0+0+1], v[vgprValuA_X1_I0+12+0+0+2:vgprValuA_X1_I0+12+0+0+2+1], a[38:39]
 // Ci += Ai*Br
/*  mfmaIndex:78  */
/* sched write - iter 1 writesPerItem=1 */
s_waitcnt vmcnt(0)                                 // lgkmcnt=-1 vmcnt=0wait for global read before writing to local
_ds_store_b128 v[vgprLocalWriteAddrA], v[vgprG2LA+52:vgprG2LA+52+3] offset:13312 // lwoA_1_0_6_0 = (1*LSCA) + (6*LSPA)(*MT0I+PAD) = 13312
v_mfma_f64_4x4x4f64 a[6+0:7+0], v[vgprValuB_X1_I0+0+0+0+2:vgprValuB_X1_I0+0+0+0+2+1], v[212:213], a[6:7]
 // Cr += -Ai*Bi
/*  mfmaIndex:79  */
_buffer_load_b128 v[vgprG2LA+52:vgprG2LA+52+3], v[vgprGlobalReadOffsetA+0], s[sgprSrdA:sgprSrdA+3], s[sgprScalarGlobalReadOffsetA+12], offen offset:0 // G -> Reg 1_0_6_0
v_mfma_f64_4x4x4f64 a[38+0:39+0], v[vgprValuB_X1_I0+0+0+0+2:vgprValuB_X1_I0+0+0+0+2+1], v[vgprValuA_X1_I0+12+0+0:vgprValuA_X1_I0+12+0+0+1], a[38:39]
 // Ci += Ar*Bi
/*  mfmaIndex:80  */
v_add_f64 v[212:213], -v[vgprValuA_X1_I0+16+0+0+2:vgprValuA_X1_I0+16+0+0+2+1], 0 // Ai=-Ai
v_mfma_f64_4x4x4f64 a[8+0:9+0], v[vgprValuB_X1_I0+0+0+0:vgprValuB_X1_I0+0+0+0+1], v[vgprValuA_X1_I0+16+0+0:vgprValuA_X1_I0+16+0+0+1], a[8:9]
 // Cr += Ar*Br
/*  mfmaIndex:81  */
/* sched write - iter 1 writesPerItem=1 */
s_waitcnt vmcnt(0)                                 // lgkmcnt=-1 vmcnt=0wait for global read before writing to local
_ds_store_b128 v[vgprLocalWriteAddrA], v[vgprG2LA+56:vgprG2LA+56+3] offset:14336 // lwoA_0_0_7_0 = (0*LSCA) + (7*LSPA)(*MT0I+PAD) = 14336
v_mfma_f64_4x4x4f64 a[40+0:41+0], v[vgprValuB_X1_I0+0+0+0:vgprValuB_X1_I0+0+0+0+1], v[vgprValuA_X1_I0+16+0+0+2:vgprValuA_X1_I0+16+0+0+2+1], a[40:41]
 // Ci += Ai*Br
/*  mfmaIndex:82  */
_buffer_load_b128 v[vgprG2LA+56:vgprG2LA+56+3], v[vgprGlobalReadOffsetA+0], s[sgprSrdA:sgprSrdA+3], s[sgprScalarGlobalReadOffsetA+13], offen offset:0 // G -> Reg 0_0_7_0
v_mfma_f64_4x4x4f64 a[8+0:9+0], v[vgprValuB_X1_I0+0+0+0+2:vgprValuB_X1_I0+0+0+0+2+1], v[212:213], a[8:9]
 // Cr += -Ai*Bi
/*  mfmaIndex:83  */
v_mfma_f64_4x4x4f64 a[40+0:41+0], v[vgprValuB_X1_I0+0+0+0+2:vgprValuB_X1_I0+0+0+0+2+1], v[vgprValuA_X1_I0+16+0+0:vgprValuA_X1_I0+16+0+0+1], a[40:41]
 // Ci += Ar*Bi
/*  mfmaIndex:84  */
/* sched write - iter 1 writesPerItem=1 */
s_waitcnt vmcnt(0)                                 // lgkmcnt=-1 vmcnt=0wait for global read before writing to local
_ds_store_b128 v[vgprLocalWriteAddrA], v[vgprG2LA+60:vgprG2LA+60+3] offset:15360 // lwoA_1_0_7_0 = (1*LSCA) + (7*LSPA)(*MT0I+PAD) = 15360
v_add_f64 v[212:213], -v[vgprValuA_X1_I0+20+0+0+2:vgprValuA_X1_I0+20+0+0+2+1], 0 // Ai=-Ai
v_mfma_f64_4x4x4f64 a[10+0:11+0], v[vgprValuB_X1_I0+0+0+0:vgprValuB_X1_I0+0+0+0+1], v[vgprValuA_X1_I0+20+0+0:vgprValuA_X1_I0+20+0+0+1], a[10:11]
 // Cr += Ar*Br
/*  mfmaIndex:85  */
_buffer_load_b128 v[vgprG2LA+60:vgprG2LA+60+3], v[vgprGlobalReadOffsetA+0], s[sgprSrdA:sgprSrdA+3], s[sgprScalarGlobalReadOffsetA+14], offen offset:0 // G -> Reg 1_0_7_0
v_mfma_f64_4x4x4f64 a[42+0:43+0], v[vgprValuB_X1_I0+0+0+0:vgprValuB_X1_I0+0+0+0+1], v[vgprValuA_X1_I0+20+0+0+2:vgprValuA_X1_I0+20+0+0+2+1], a[42:43]
 // Ci += Ai*Br
/*  mfmaIndex:86  */
v_mfma_f64_4x4x4f64 a[10+0:11+0], v[vgprValuB_X1_I0+0+0+0+2:vgprValuB_X1_I0+0+0+0+2+1], v[212:213], a[10:11]
 // Cr += -Ai*Bi
/*  mfmaIndex:87  */
v_mfma_f64_4x4x4f64 a[42+0:43+0], v[vgprValuB_X1_I0+0+0+0+2:vgprValuB_X1_I0+0+0+0+2+1], v[vgprValuA_X1_I0+20+0+0:vgprValuA_X1_I0+20+0+0+1], a[42:43]
 // Ci += Ar*Bi
/*  mfmaIndex:88  */
/* sched write - iter 1 writesPerItem=1 */
s_waitcnt vmcnt(0)                                 // lgkmcnt=-1 vmcnt=0wait for global read before writing to local
_ds_store_b128 v[vgprLocalWriteAddrB], v[vgprG2LB+0:vgprG2LB+0+3] offset:0 // lwoB_0_0_0_0 = (0*LSCB)*(MT1J+PAD) + (0*LSPB) = 0
v_add_f64 v[212:213], -v[vgprValuA_X1_I0+24+0+0+2:vgprValuA_X1_I0+24+0+0+2+1], 0 // Ai=-Ai
v_mfma_f64_4x4x4f64 a[12+0:13+0], v[vgprValuB_X1_I0+0+0+0:vgprValuB_X1_I0+0+0+0+1], v[vgprValuA_X1_I0+24+0+0:vgprValuA_X1_I0+24+0+0+1], a[12:13]
 // Cr += Ar*Br
/*  mfmaIndex:89  */
_buffer_load_b128 v[vgprG2LB+0:vgprG2LB+0+3], v[vgprGlobalReadOffsetB+0], s[sgprSrdB:sgprSrdB+3], 0, offen offset:0 // G -> Reg 0_0_0_0

/* local write swap offsets a */

/* local write swap offsets b */
v_mfma_f64_4x4x4f64 a[44+0:45+0], v[vgprValuB_X1_I0+0+0+0:vgprValuB_X1_I0+0+0+0+1], v[vgprValuA_X1_I0+24+0+0+2:vgprValuA_X1_I0+24+0+0+2+1], a[44:45]
 // Ci += Ai*Br
/*  mfmaIndex:90  */
v_mfma_f64_4x4x4f64 a[12+0:13+0], v[vgprValuB_X1_I0+0+0+0+2:vgprValuB_X1_I0+0+0+0+2+1], v[212:213], a[12:13]
 // Cr += -Ai*Bi
/*  mfmaIndex:91  */
s_waitcnt lgkmcnt(0)                               // lgkmcnt=0 vmcnt=-13wait for local write
// Skip barrier: NumThreads=64
v_mfma_f64_4x4x4f64 a[44+0:45+0], v[vgprValuB_X1_I0+0+0+0+2:vgprValuB_X1_I0+0+0+0+2+1], v[vgprValuA_X1_I0+24+0+0:vgprValuA_X1_I0+24+0+0+1], a[44:45]
 // Ci += Ar*Bi
/*  mfmaIndex:92  */
_ds_load_b128 v[vgprValuA_X0_I0+0:vgprValuA_X0_I0+0+3], v[vgprLocalReadAddrA] offset:0 // L -> Reg lro=0 swapByteOffset=0 ti=8 vIdx=0 rIdx=0 oIdx=0 buffer=0 iui=0
v_add_f64 v[212:213], -v[vgprValuA_X1_I0+28+0+0+2:vgprValuA_X1_I0+28+0+0+2+1], 0 // Ai=-Ai
v_mfma_f64_4x4x4f64 a[14+0:15+0], v[vgprValuB_X1_I0+0+0+0:vgprValuB_X1_I0+0+0+0+1], v[vgprValuA_X1_I0+28+0+0:vgprValuA_X1_I0+28+0+0+1], a[14:15]
 // Cr += Ar*Br
/*  mfmaIndex:93  */
_ds_load_b128 v[vgprValuB_X0_I0+0:vgprValuB_X0_I0+0+3], v[vgprLocalReadAddrB] offset:0 // L -> Reg lro=0 swapByteOffset=0 ti=8 vIdx=0 rIdx=0 oIdx=0 buffer=0 iui=0
v_mfma_f64_4x4x4f64 a[46+0:47+0], v[vgprValuB_X1_I0+0+0+0:vgprValuB_X1_I0+0+0+0+1], v[vgprValuA_X1_I0+28+0+0+2:vgprValuA_X1_I0+28+0+0+2+1], a[46:47]
 // Ci += Ai*Br
/*  mfmaIndex:94  */
_ds_load_b128 v[vgprValuA_X0_I0+4:vgprValuA_X0_I0+4+3], v[vgprLocalReadAddrA] offset:128 // L -> Reg lro=0 swapByteOffset=0 ti=8 vIdx=1 rIdx=0 oIdx=0 buffer=0 iui=0
v_mfma_f64_4x4x4f64 a[14+0:15+0], v[vgprValuB_X1_I0+0+0+0+2:vgprValuB_X1_I0+0+0+0+2+1], v[212:213], a[14:15]
 // Cr += -Ai*Bi
/*  mfmaIndex:95  */
_ds_load_b128 v[vgprValuA_X0_I0+8:vgprValuA_X0_I0+8+3], v[vgprLocalReadAddrA] offset:256 // L -> Reg lro=0 swapByteOffset=0 ti=8 vIdx=2 rIdx=0 oIdx=0 buffer=0 iui=0
v_mfma_f64_4x4x4f64 a[46+0:47+0], v[vgprValuB_X1_I0+0+0+0+2:vgprValuB_X1_I0+0+0+0+2+1], v[vgprValuA_X1_I0+28+0+0:vgprValuA_X1_I0+28+0+0+1], a[46:47]
 // Ci += Ar*Bi
/*  mfmaIndex:96  */
_ds_load_b128 v[vgprValuA_X0_I0+12:vgprValuA_X0_I0+12+3], v[vgprLocalReadAddrA] offset:384 // L -> Reg lro=0 swapByteOffset=0 ti=8 vIdx=3 rIdx=0 oIdx=0 buffer=0 iui=0
v_add_f64 v[212:213], -v[vgprValuA_X1_I0+32+0+0+2:vgprValuA_X1_I0+32+0+0+2+1], 0 // Ai=-Ai
v_mfma_f64_4x4x4f64 a[16+0:17+0], v[vgprValuB_X1_I0+0+0+0:vgprValuB_X1_I0+0+0+0+1], v[vgprValuA_X1_I0+32+0+0:vgprValuA_X1_I0+32+0+0+1], a[16:17]
 // Cr += Ar*Br
/*  mfmaIndex:97  */
_ds_load_b128 v[vgprValuA_X0_I0+16:vgprValuA_X0_I0+16+3], v[vgprLocalReadAddrA] offset:512 // L -> Reg lro=0 swapByteOffset=0 ti=8 vIdx=4 rIdx=0 oIdx=0 buffer=0 iui=0
v_mfma_f64_4x4x4f64 a[48+0:49+0], v[vgprValuB_X1_I0+0+0+0:vgprValuB_X1_I0+0+0+0+1], v[vgprValuA_X1_I0+32+0+0+2:vgprValuA_X1_I0+32+0+0+2+1], a[48:49]
 // Ci += Ai*Br
/*  mfmaIndex:98  */
_ds_load_b128 v[vgprValuA_X0_I0+20:vgprValuA_X0_I0+20+3], v[vgprLocalReadAddrA] offset:640 // L -> Reg lro=0 swapByteOffset=0 ti=8 vIdx=5 rIdx=0 oIdx=0 buffer=0 iui=0
v_mfma_f64_4x4x4f64 a[16+0:17+0], v[vgprValuB_X1_I0+0+0+0+2:vgprValuB_X1_I0+0+0+0+2+1], v[212:213], a[16:17]
 // Cr += -Ai*Bi
/*  mfmaIndex:99  */
_ds_load_b128 v[vgprValuA_X0_I0+24:vgprValuA_X0_I0+24+3], v[vgprLocalReadAddrA] offset:768 // L -> Reg lro=0 swapByteOffset=0 ti=8 vIdx=6 rIdx=0 oIdx=0 buffer=0 iui=0
v_mfma_f64_4x4x4f64 a[48+0:49+0], v[vgprValuB_X1_I0+0+0+0+2:vgprValuB_X1_I0+0+0+0+2+1], v[vgprValuA_X1_I0+32+0+0:vgprValuA_X1_I0+32+0+0+1], a[48:49]
 // Ci += Ar*Bi
/*  mfmaIndex:100  */
_ds_load_b128 v[vgprValuA_X0_I0+28:vgprValuA_X0_I0+28+3], v[vgprLocalReadAddrA] offset:896 // L -> Reg lro=0 swapByteOffset=0 ti=8 vIdx=7 rIdx=0 oIdx=0 buffer=0 iui=0
v_add_f64 v[212:213], -v[vgprValuA_X1_I0+36+0+0+2:vgprValuA_X1_I0+36+0+0+2+1], 0 // Ai=-Ai
v_mfma_f64_4x4x4f64 a[18+0:19+0], v[vgprValuB_X1_I0+0+0+0:vgprValuB_X1_I0+0+0+0+1], v[vgprValuA_X1_I0+36+0+0:vgprValuA_X1_I0+36+0+0+1], a[18:19]
 // Cr += Ar*Br
/*  mfmaIndex:101  */
_ds_load_b128 v[vgprValuA_X0_I0+32:vgprValuA_X0_I0+32+3], v[vgprLocalReadAddrA] offset:1024 // L -> Reg lro=0 swapByteOffset=0 ti=8 vIdx=8 rIdx=0 oIdx=0 buffer=0 iui=0
	;; [unrolled: 17-line block ×3, first 2 shown]
v_mfma_f64_4x4x4f64 a[52+0:53+0], v[vgprValuB_X1_I0+0+0+0:vgprValuB_X1_I0+0+0+0+1], v[vgprValuA_X1_I0+40+0+0+2:vgprValuA_X1_I0+40+0+0+2+1], a[52:53]
 // Ci += Ai*Br
/*  mfmaIndex:106  */
_ds_load_b128 v[vgprValuA_X0_I0+52:vgprValuA_X0_I0+52+3], v[vgprLocalReadAddrA] offset:1664 // L -> Reg lro=0 swapByteOffset=0 ti=8 vIdx=13 rIdx=0 oIdx=0 buffer=0 iui=0
v_mfma_f64_4x4x4f64 a[20+0:21+0], v[vgprValuB_X1_I0+0+0+0+2:vgprValuB_X1_I0+0+0+0+2+1], v[212:213], a[20:21]
 // Cr += -Ai*Bi
/*  mfmaIndex:107  */
_ds_load_b128 v[vgprValuA_X0_I0+56:vgprValuA_X0_I0+56+3], v[vgprLocalReadAddrA] offset:1792 // L -> Reg lro=0 swapByteOffset=0 ti=8 vIdx=14 rIdx=0 oIdx=0 buffer=0 iui=0
v_mfma_f64_4x4x4f64 a[52+0:53+0], v[vgprValuB_X1_I0+0+0+0+2:vgprValuB_X1_I0+0+0+0+2+1], v[vgprValuA_X1_I0+40+0+0:vgprValuA_X1_I0+40+0+0+1], a[52:53]
 // Ci += Ar*Bi
/*  mfmaIndex:108  */
_ds_load_b128 v[vgprValuA_X0_I0+60:vgprValuA_X0_I0+60+3], v[vgprLocalReadAddrA] offset:1920 // L -> Reg lro=0 swapByteOffset=0 ti=8 vIdx=15 rIdx=0 oIdx=0 buffer=0 iui=0
v_add_f64 v[212:213], -v[vgprValuA_X1_I0+44+0+0+2:vgprValuA_X1_I0+44+0+0+2+1], 0 // Ai=-Ai
v_mfma_f64_4x4x4f64 a[22+0:23+0], v[vgprValuB_X1_I0+0+0+0:vgprValuB_X1_I0+0+0+0+1], v[vgprValuA_X1_I0+44+0+0:vgprValuA_X1_I0+44+0+0+1], a[22:23]
 // Cr += Ar*Br
/*  mfmaIndex:109  */
v_mfma_f64_4x4x4f64 a[54+0:55+0], v[vgprValuB_X1_I0+0+0+0:vgprValuB_X1_I0+0+0+0+1], v[vgprValuA_X1_I0+44+0+0+2:vgprValuA_X1_I0+44+0+0+2+1], a[54:55]
 // Ci += Ai*Br
/*  mfmaIndex:110  */
v_mfma_f64_4x4x4f64 a[22+0:23+0], v[vgprValuB_X1_I0+0+0+0+2:vgprValuB_X1_I0+0+0+0+2+1], v[212:213], a[22:23]
 // Cr += -Ai*Bi
/*  mfmaIndex:111  */
v_mfma_f64_4x4x4f64 a[54+0:55+0], v[vgprValuB_X1_I0+0+0+0+2:vgprValuB_X1_I0+0+0+0+2+1], v[vgprValuA_X1_I0+44+0+0:vgprValuA_X1_I0+44+0+0+1], a[54:55]
 // Ci += Ar*Bi
/*  mfmaIndex:112  */
v_add_f64 v[212:213], -v[vgprValuA_X1_I0+48+0+0+2:vgprValuA_X1_I0+48+0+0+2+1], 0 // Ai=-Ai
v_mfma_f64_4x4x4f64 a[24+0:25+0], v[vgprValuB_X1_I0+0+0+0:vgprValuB_X1_I0+0+0+0+1], v[vgprValuA_X1_I0+48+0+0:vgprValuA_X1_I0+48+0+0+1], a[24:25]
 // Cr += Ar*Br
/*  mfmaIndex:113  */
v_mfma_f64_4x4x4f64 a[56+0:57+0], v[vgprValuB_X1_I0+0+0+0:vgprValuB_X1_I0+0+0+0+1], v[vgprValuA_X1_I0+48+0+0+2:vgprValuA_X1_I0+48+0+0+2+1], a[56:57]
 // Ci += Ai*Br
/*  mfmaIndex:114  */
v_mfma_f64_4x4x4f64 a[24+0:25+0], v[vgprValuB_X1_I0+0+0+0+2:vgprValuB_X1_I0+0+0+0+2+1], v[212:213], a[24:25]
 // Cr += -Ai*Bi
/*  mfmaIndex:115  */
v_mfma_f64_4x4x4f64 a[56+0:57+0], v[vgprValuB_X1_I0+0+0+0+2:vgprValuB_X1_I0+0+0+0+2+1], v[vgprValuA_X1_I0+48+0+0:vgprValuA_X1_I0+48+0+0+1], a[56:57]
 // Ci += Ar*Bi
/*  mfmaIndex:116  */
	;; [unrolled: 13-line block ×4, first 2 shown]
v_add_f64 v[212:213], -v[vgprValuA_X1_I0+60+0+0+2:vgprValuA_X1_I0+60+0+0+2+1], 0 // Ai=-Ai
v_mfma_f64_4x4x4f64 a[30+0:31+0], v[vgprValuB_X1_I0+0+0+0:vgprValuB_X1_I0+0+0+0+1], v[vgprValuA_X1_I0+60+0+0:vgprValuA_X1_I0+60+0+0+1], a[30:31]
 // Cr += Ar*Br
/*  mfmaIndex:125  */
v_mfma_f64_4x4x4f64 a[62+0:63+0], v[vgprValuB_X1_I0+0+0+0:vgprValuB_X1_I0+0+0+0+1], v[vgprValuA_X1_I0+60+0+0+2:vgprValuA_X1_I0+60+0+0+2+1], a[62:63]
 // Ci += Ai*Br
/*  mfmaIndex:126  */
v_mfma_f64_4x4x4f64 a[30+0:31+0], v[vgprValuB_X1_I0+0+0+0+2:vgprValuB_X1_I0+0+0+0+2+1], v[212:213], a[30:31]
 // Cr += -Ai*Bi
/*  mfmaIndex:127  */
v_mfma_f64_4x4x4f64 a[62+0:63+0], v[vgprValuB_X1_I0+0+0+0+2:vgprValuB_X1_I0+0+0+0+2+1], v[vgprValuA_X1_I0+60+0+0:vgprValuA_X1_I0+60+0+0+1], a[62:63]
 // Ci += Ar*Bi


/******************************************/
/* Unrolled Loop - End 2/2 (final)        */
/******************************************/


/* closeLoop loopL finalLoop=1 tailLoop=0 */
s_sub_u32 s[sgprLoopCounterL], s[sgprLoopCounterL], 1 // dec counterL
s_cmp_eq_i32 s[sgprLoopCounterL], 0x2              // counterL==2
s_cbranch_scc0 LoopBeginL_1                        // restart LoopL
LoopEndL_evenexit_4: // unroll loop eveniter exit
s_branch LoopEndL_2                                // exit unroll loopL (and skip second exit code)
LoopEndL_oddexit_3: // unroll loop odditer exit

/* Select high bank of LDS */
LoopEndL_2:


/* Before NLL: Check VGPR.checkin for INT8 LW */


/******************************************/
/* Ord. NoGlobalLoadLoop - Begin                                      */
/******************************************/


	;; [unrolled: 1-line block ×3, first 2 shown]
/* iter 0 (reset local read pointers iteration)  (swap local read pointers iteration)  */

/*  grEndMfmaIndex:12, lwStartMfmaIndex:38, lwEndMfmaIndex:89  */
/*  numMfmaForLR:36, barrierMfmaIndex:91, LocalWritePerMfma:0.320 */
/*  mfmaIndex:0  */
s_waitcnt lgkmcnt(0)                               // lgkmcnt=0 vmcnt=-1wait for prior local read local write old=0, new=0 newLW=0 newLR=0
v_add_f64 v[212:213], -v[vgprValuA_X0_I0+0+0+0+2:vgprValuA_X0_I0+0+0+0+2+1], 0 // Ai=-Ai
v_mfma_f64_4x4x4f64 a[0+0:1+0], v[vgprValuB_X0_I0+0+0+0:vgprValuB_X0_I0+0+0+0+1], v[vgprValuA_X0_I0+0+0+0:vgprValuA_X0_I0+0+0+0+1], a[0:1]
 // Cr += Ar*Br
/*  mfmaIndex:1  */
_ds_load_b128 v[vgprValuA_X1_I0+0:vgprValuA_X1_I0+0+3], v[vgprLocalReadAddrA] offset:8192 // L -> Reg lro=512 swapByteOffset=0 ti=8 vIdx=0 rIdx=0 oIdx=0 buffer=1 iui=0

/* global read inc A loopL */
s_add_u32 s[sgprSrdA+0], s[sgprSrdA+0], s[sgprGlobalReadIncsA+0] // gra SRD += inc(lower)
v_mfma_f64_4x4x4f64 a[32+0:33+0], v[vgprValuB_X0_I0+0+0+0:vgprValuB_X0_I0+0+0+0+1], v[vgprValuA_X0_I0+0+0+0+2:vgprValuA_X0_I0+0+0+0+2+1], a[32:33]
 // Ci += Ai*Br
/*  mfmaIndex:2  */
_ds_load_b128 v[vgprValuB_X1_I0+0:vgprValuB_X1_I0+0+3], v[vgprLocalReadAddrB] offset:64 // L -> Reg lro=4 swapByteOffset=0 ti=8 vIdx=0 rIdx=0 oIdx=0 buffer=1 iui=0
s_addc_u32  s[sgprSrdA+1], s[sgprSrdA+1], 0        // gra SRD += inc(upper)
v_mfma_f64_4x4x4f64 a[0+0:1+0], v[vgprValuB_X0_I0+0+0+0+2:vgprValuB_X0_I0+0+0+0+2+1], v[212:213], a[0:1]
 // Cr += -Ai*Bi
/*  mfmaIndex:3  */
_ds_load_b128 v[vgprValuA_X1_I0+4:vgprValuA_X1_I0+4+3], v[vgprLocalReadAddrA] offset:8320 // L -> Reg lro=512 swapByteOffset=0 ti=8 vIdx=1 rIdx=0 oIdx=0 buffer=1 iui=0
s_sub_u32 s[sgprShadowLimitA+0], s[sgprShadowLimitA+0], s[sgprGlobalReadIncsA+0] // limit -= inc)
v_mfma_f64_4x4x4f64 a[32+0:33+0], v[vgprValuB_X0_I0+0+0+0+2:vgprValuB_X0_I0+0+0+0+2+1], v[vgprValuA_X0_I0+0+0+0:vgprValuA_X0_I0+0+0+0+1], a[32:33]
 // Ci += Ar*Bi
/*  mfmaIndex:4  */
_ds_load_b128 v[vgprValuA_X1_I0+8:vgprValuA_X1_I0+8+3], v[vgprLocalReadAddrA] offset:8448 // L -> Reg lro=512 swapByteOffset=0 ti=8 vIdx=2 rIdx=0 oIdx=0 buffer=1 iui=0
s_subb_u32 s[sgprShadowLimitA+1], s[sgprShadowLimitA+1], 0 // limit -= inc)
v_add_f64 v[212:213], -v[vgprValuA_X0_I0+4+0+0+2:vgprValuA_X0_I0+4+0+0+2+1], 0 // Ai=-Ai
v_mfma_f64_4x4x4f64 a[2+0:3+0], v[vgprValuB_X0_I0+0+0+0:vgprValuB_X0_I0+0+0+0+1], v[vgprValuA_X0_I0+4+0+0:vgprValuA_X0_I0+4+0+0+1], a[2:3]
 // Cr += Ar*Br
/*  mfmaIndex:5  */
_ds_load_b128 v[vgprValuA_X1_I0+12:vgprValuA_X1_I0+12+3], v[vgprLocalReadAddrA] offset:8576 // L -> Reg lro=512 swapByteOffset=0 ti=8 vIdx=3 rIdx=0 oIdx=0 buffer=1 iui=0
s_cmp_eq_u32 s[sgprShadowLimitA+1], 0              // are we within 2^32?
v_mfma_f64_4x4x4f64 a[34+0:35+0], v[vgprValuB_X0_I0+0+0+0:vgprValuB_X0_I0+0+0+0+1], v[vgprValuA_X0_I0+4+0+0+2:vgprValuA_X0_I0+4+0+0+2+1], a[34:35]
 // Ci += Ai*Br
/*  mfmaIndex:6  */
_ds_load_b128 v[vgprValuA_X1_I0+16:vgprValuA_X1_I0+16+3], v[vgprLocalReadAddrA] offset:8704 // L -> Reg lro=512 swapByteOffset=0 ti=8 vIdx=4 rIdx=0 oIdx=0 buffer=1 iui=0
s_cmov_b32 s[sgprSrdA+2], s[sgprShadowLimitA+0]    // Move shadow to real if we are within 2^32
v_mfma_f64_4x4x4f64 a[2+0:3+0], v[vgprValuB_X0_I0+0+0+0+2:vgprValuB_X0_I0+0+0+0+2+1], v[212:213], a[2:3]
 // Cr += -Ai*Bi
/*  mfmaIndex:7  */
_ds_load_b128 v[vgprValuA_X1_I0+20:vgprValuA_X1_I0+20+3], v[vgprLocalReadAddrA] offset:8832 // L -> Reg lro=512 swapByteOffset=0 ti=8 vIdx=5 rIdx=0 oIdx=0 buffer=1 iui=0

/* global read inc B loopL */
s_add_u32 s[sgprSrdB+0], s[sgprSrdB+0], s[sgprGlobalReadIncsB+0] // gra SRD += inc(lower)
v_mfma_f64_4x4x4f64 a[34+0:35+0], v[vgprValuB_X0_I0+0+0+0+2:vgprValuB_X0_I0+0+0+0+2+1], v[vgprValuA_X0_I0+4+0+0:vgprValuA_X0_I0+4+0+0+1], a[34:35]
 // Ci += Ar*Bi
/*  mfmaIndex:8  */
_ds_load_b128 v[vgprValuA_X1_I0+24:vgprValuA_X1_I0+24+3], v[vgprLocalReadAddrA] offset:8960 // L -> Reg lro=512 swapByteOffset=0 ti=8 vIdx=6 rIdx=0 oIdx=0 buffer=1 iui=0
s_addc_u32  s[sgprSrdB+1], s[sgprSrdB+1], 0        // gra SRD += inc(upper)
v_add_f64 v[212:213], -v[vgprValuA_X0_I0+8+0+0+2:vgprValuA_X0_I0+8+0+0+2+1], 0 // Ai=-Ai
v_mfma_f64_4x4x4f64 a[4+0:5+0], v[vgprValuB_X0_I0+0+0+0:vgprValuB_X0_I0+0+0+0+1], v[vgprValuA_X0_I0+8+0+0:vgprValuA_X0_I0+8+0+0+1], a[4:5]
 // Cr += Ar*Br
/*  mfmaIndex:9  */
_ds_load_b128 v[vgprValuA_X1_I0+28:vgprValuA_X1_I0+28+3], v[vgprLocalReadAddrA] offset:9088 // L -> Reg lro=512 swapByteOffset=0 ti=8 vIdx=7 rIdx=0 oIdx=0 buffer=1 iui=0
s_sub_u32 s[sgprShadowLimitB+0], s[sgprShadowLimitB+0], s[sgprGlobalReadIncsB+0] // limit -= inc)
v_mfma_f64_4x4x4f64 a[36+0:37+0], v[vgprValuB_X0_I0+0+0+0:vgprValuB_X0_I0+0+0+0+1], v[vgprValuA_X0_I0+8+0+0+2:vgprValuA_X0_I0+8+0+0+2+1], a[36:37]
 // Ci += Ai*Br
/*  mfmaIndex:10  */
_ds_load_b128 v[vgprValuA_X1_I0+32:vgprValuA_X1_I0+32+3], v[vgprLocalReadAddrA] offset:9216 // L -> Reg lro=512 swapByteOffset=0 ti=8 vIdx=8 rIdx=0 oIdx=0 buffer=1 iui=0
s_subb_u32 s[sgprShadowLimitB+1], s[sgprShadowLimitB+1], 0 // limit -= inc)
v_mfma_f64_4x4x4f64 a[4+0:5+0], v[vgprValuB_X0_I0+0+0+0+2:vgprValuB_X0_I0+0+0+0+2+1], v[212:213], a[4:5]
 // Cr += -Ai*Bi
/*  mfmaIndex:11  */
_ds_load_b128 v[vgprValuA_X1_I0+36:vgprValuA_X1_I0+36+3], v[vgprLocalReadAddrA] offset:9344 // L -> Reg lro=512 swapByteOffset=0 ti=8 vIdx=9 rIdx=0 oIdx=0 buffer=1 iui=0
s_cmp_eq_u32 s[sgprShadowLimitB+1], 0              // are we within 2^32?
v_mfma_f64_4x4x4f64 a[36+0:37+0], v[vgprValuB_X0_I0+0+0+0+2:vgprValuB_X0_I0+0+0+0+2+1], v[vgprValuA_X0_I0+8+0+0:vgprValuA_X0_I0+8+0+0+1], a[36:37]
 // Ci += Ar*Bi
/*  mfmaIndex:12  */
_ds_load_b128 v[vgprValuA_X1_I0+40:vgprValuA_X1_I0+40+3], v[vgprLocalReadAddrA] offset:9472 // L -> Reg lro=512 swapByteOffset=0 ti=8 vIdx=10 rIdx=0 oIdx=0 buffer=1 iui=0
s_cmov_b32 s[sgprSrdB+2], s[sgprShadowLimitB+0]    // Move shadow to real if we are within 2^32
v_add_f64 v[212:213], -v[vgprValuA_X0_I0+12+0+0+2:vgprValuA_X0_I0+12+0+0+2+1], 0 // Ai=-Ai
v_mfma_f64_4x4x4f64 a[6+0:7+0], v[vgprValuB_X0_I0+0+0+0:vgprValuB_X0_I0+0+0+0+1], v[vgprValuA_X0_I0+12+0+0:vgprValuA_X0_I0+12+0+0+1], a[6:7]
 // Cr += Ar*Br
/*  mfmaIndex:13  */
_ds_load_b128 v[vgprValuA_X1_I0+44:vgprValuA_X1_I0+44+3], v[vgprLocalReadAddrA] offset:9600 // L -> Reg lro=512 swapByteOffset=0 ti=8 vIdx=11 rIdx=0 oIdx=0 buffer=1 iui=0
v_mfma_f64_4x4x4f64 a[38+0:39+0], v[vgprValuB_X0_I0+0+0+0:vgprValuB_X0_I0+0+0+0+1], v[vgprValuA_X0_I0+12+0+0+2:vgprValuA_X0_I0+12+0+0+2+1], a[38:39]
 // Ci += Ai*Br
/*  mfmaIndex:14  */
_ds_load_b128 v[vgprValuA_X1_I0+48:vgprValuA_X1_I0+48+3], v[vgprLocalReadAddrA] offset:9728 // L -> Reg lro=512 swapByteOffset=0 ti=8 vIdx=12 rIdx=0 oIdx=0 buffer=1 iui=0
v_mfma_f64_4x4x4f64 a[6+0:7+0], v[vgprValuB_X0_I0+0+0+0+2:vgprValuB_X0_I0+0+0+0+2+1], v[212:213], a[6:7]
 // Cr += -Ai*Bi
/*  mfmaIndex:15  */
_ds_load_b128 v[vgprValuA_X1_I0+52:vgprValuA_X1_I0+52+3], v[vgprLocalReadAddrA] offset:9856 // L -> Reg lro=512 swapByteOffset=0 ti=8 vIdx=13 rIdx=0 oIdx=0 buffer=1 iui=0
v_mfma_f64_4x4x4f64 a[38+0:39+0], v[vgprValuB_X0_I0+0+0+0+2:vgprValuB_X0_I0+0+0+0+2+1], v[vgprValuA_X0_I0+12+0+0:vgprValuA_X0_I0+12+0+0+1], a[38:39]
 // Ci += Ar*Bi
/*  mfmaIndex:16  */
_ds_load_b128 v[vgprValuA_X1_I0+56:vgprValuA_X1_I0+56+3], v[vgprLocalReadAddrA] offset:9984 // L -> Reg lro=512 swapByteOffset=0 ti=8 vIdx=14 rIdx=0 oIdx=0 buffer=1 iui=0
v_add_f64 v[212:213], -v[vgprValuA_X0_I0+16+0+0+2:vgprValuA_X0_I0+16+0+0+2+1], 0 // Ai=-Ai
v_mfma_f64_4x4x4f64 a[8+0:9+0], v[vgprValuB_X0_I0+0+0+0:vgprValuB_X0_I0+0+0+0+1], v[vgprValuA_X0_I0+16+0+0:vgprValuA_X0_I0+16+0+0+1], a[8:9]
 // Cr += Ar*Br
/*  mfmaIndex:17  */
_ds_load_b128 v[vgprValuA_X1_I0+60:vgprValuA_X1_I0+60+3], v[vgprLocalReadAddrA] offset:10112 // L -> Reg lro=512 swapByteOffset=0 ti=8 vIdx=15 rIdx=0 oIdx=0 buffer=1 iui=0
v_mfma_f64_4x4x4f64 a[40+0:41+0], v[vgprValuB_X0_I0+0+0+0:vgprValuB_X0_I0+0+0+0+1], v[vgprValuA_X0_I0+16+0+0+2:vgprValuA_X0_I0+16+0+0+2+1], a[40:41]
 // Ci += Ai*Br
/*  mfmaIndex:18  */
/* localReadsVacancy: latencyLeft 1 */
v_mfma_f64_4x4x4f64 a[8+0:9+0], v[vgprValuB_X0_I0+0+0+0+2:vgprValuB_X0_I0+0+0+0+2+1], v[212:213], a[8:9]
 // Cr += -Ai*Bi
/*  mfmaIndex:19  */
/* localReadsVacancy: latencyLeft 1 */
v_mfma_f64_4x4x4f64 a[40+0:41+0], v[vgprValuB_X0_I0+0+0+0+2:vgprValuB_X0_I0+0+0+0+2+1], v[vgprValuA_X0_I0+16+0+0:vgprValuA_X0_I0+16+0+0+1], a[40:41]
 // Ci += Ar*Bi
/*  mfmaIndex:20  */
/* localReadsVacancy: latencyLeft 1 */
v_add_f64 v[212:213], -v[vgprValuA_X0_I0+20+0+0+2:vgprValuA_X0_I0+20+0+0+2+1], 0 // Ai=-Ai
v_mfma_f64_4x4x4f64 a[10+0:11+0], v[vgprValuB_X0_I0+0+0+0:vgprValuB_X0_I0+0+0+0+1], v[vgprValuA_X0_I0+20+0+0:vgprValuA_X0_I0+20+0+0+1], a[10:11]
 // Cr += Ar*Br
/*  mfmaIndex:21  */
/* localReadsVacancy: latencyLeft 1 */
v_mfma_f64_4x4x4f64 a[42+0:43+0], v[vgprValuB_X0_I0+0+0+0:vgprValuB_X0_I0+0+0+0+1], v[vgprValuA_X0_I0+20+0+0+2:vgprValuA_X0_I0+20+0+0+2+1], a[42:43]
 // Ci += Ai*Br
/*  mfmaIndex:22  */
/* localReadsVacancy: latencyLeft 1 */
v_mfma_f64_4x4x4f64 a[10+0:11+0], v[vgprValuB_X0_I0+0+0+0+2:vgprValuB_X0_I0+0+0+0+2+1], v[212:213], a[10:11]
 // Cr += -Ai*Bi
/*  mfmaIndex:23  */
/* localReadsVacancy: latencyLeft 1 */
v_mfma_f64_4x4x4f64 a[42+0:43+0], v[vgprValuB_X0_I0+0+0+0+2:vgprValuB_X0_I0+0+0+0+2+1], v[vgprValuA_X0_I0+20+0+0:vgprValuA_X0_I0+20+0+0+1], a[42:43]
 // Ci += Ar*Bi
/*  mfmaIndex:24  */
/* localReadsVacancy: latencyLeft 1 */
v_add_f64 v[212:213], -v[vgprValuA_X0_I0+24+0+0+2:vgprValuA_X0_I0+24+0+0+2+1], 0 // Ai=-Ai
v_mfma_f64_4x4x4f64 a[12+0:13+0], v[vgprValuB_X0_I0+0+0+0:vgprValuB_X0_I0+0+0+0+1], v[vgprValuA_X0_I0+24+0+0:vgprValuA_X0_I0+24+0+0+1], a[12:13]
 // Cr += Ar*Br
/*  mfmaIndex:25  */
/* localReadsVacancy: latencyLeft 1 */
	;; [unrolled: 17-line block ×5, first 2 shown]
/* 1 LDS buffer: read-sync-write */
s_waitcnt lgkmcnt(0)                               // 
s_barrier                                          // 
v_mfma_f64_4x4x4f64 a[50+0:51+0], v[vgprValuB_X0_I0+0+0+0:vgprValuB_X0_I0+0+0+0+1], v[vgprValuA_X0_I0+36+0+0+2:vgprValuA_X0_I0+36+0+0+2+1], a[50:51]
 // Ci += Ai*Br
/*  mfmaIndex:38  */
/* sched write - iter 0 writesPerItem=1 */
s_waitcnt vmcnt(0)                                 // lgkmcnt=-1 vmcnt=0wait for global read before writing to local
_ds_store_b128 v[vgprLocalWriteAddrA], v[vgprG2LA+0:vgprG2LA+0+3] offset:0 // lwoA_0_0_0_0 = (0*LSCA) + (0*LSPA)(*MT0I+PAD) = 0
v_mfma_f64_4x4x4f64 a[18+0:19+0], v[vgprValuB_X0_I0+0+0+0+2:vgprValuB_X0_I0+0+0+0+2+1], v[212:213], a[18:19]
 // Cr += -Ai*Bi
/*  mfmaIndex:39  */
v_mfma_f64_4x4x4f64 a[50+0:51+0], v[vgprValuB_X0_I0+0+0+0+2:vgprValuB_X0_I0+0+0+0+2+1], v[vgprValuA_X0_I0+36+0+0:vgprValuA_X0_I0+36+0+0+1], a[50:51]
 // Ci += Ar*Bi
/*  mfmaIndex:40  */
v_add_f64 v[212:213], -v[vgprValuA_X0_I0+40+0+0+2:vgprValuA_X0_I0+40+0+0+2+1], 0 // Ai=-Ai
v_mfma_f64_4x4x4f64 a[20+0:21+0], v[vgprValuB_X0_I0+0+0+0:vgprValuB_X0_I0+0+0+0+1], v[vgprValuA_X0_I0+40+0+0:vgprValuA_X0_I0+40+0+0+1], a[20:21]
 // Cr += Ar*Br
/*  mfmaIndex:41  */
/* sched write - iter 0 writesPerItem=1 */
s_waitcnt vmcnt(0)                                 // lgkmcnt=-1 vmcnt=0wait for global read before writing to local
_ds_store_b128 v[vgprLocalWriteAddrA], v[vgprG2LA+4:vgprG2LA+4+3] offset:1024 // lwoA_1_0_0_0 = (1*LSCA) + (0*LSPA)(*MT0I+PAD) = 1024
v_mfma_f64_4x4x4f64 a[52+0:53+0], v[vgprValuB_X0_I0+0+0+0:vgprValuB_X0_I0+0+0+0+1], v[vgprValuA_X0_I0+40+0+0+2:vgprValuA_X0_I0+40+0+0+2+1], a[52:53]
 // Ci += Ai*Br
/*  mfmaIndex:42  */
v_mfma_f64_4x4x4f64 a[20+0:21+0], v[vgprValuB_X0_I0+0+0+0+2:vgprValuB_X0_I0+0+0+0+2+1], v[212:213], a[20:21]
 // Cr += -Ai*Bi
/*  mfmaIndex:43  */
v_mfma_f64_4x4x4f64 a[52+0:53+0], v[vgprValuB_X0_I0+0+0+0+2:vgprValuB_X0_I0+0+0+0+2+1], v[vgprValuA_X0_I0+40+0+0:vgprValuA_X0_I0+40+0+0+1], a[52:53]
 // Ci += Ar*Bi
/*  mfmaIndex:44  */
/* sched write - iter 0 writesPerItem=1 */
s_waitcnt vmcnt(0)                                 // lgkmcnt=-1 vmcnt=0wait for global read before writing to local
_ds_store_b128 v[vgprLocalWriteAddrA], v[vgprG2LA+8:vgprG2LA+8+3] offset:2048 // lwoA_0_0_1_0 = (0*LSCA) + (1*LSPA)(*MT0I+PAD) = 2048
v_add_f64 v[212:213], -v[vgprValuA_X0_I0+44+0+0+2:vgprValuA_X0_I0+44+0+0+2+1], 0 // Ai=-Ai
v_mfma_f64_4x4x4f64 a[22+0:23+0], v[vgprValuB_X0_I0+0+0+0:vgprValuB_X0_I0+0+0+0+1], v[vgprValuA_X0_I0+44+0+0:vgprValuA_X0_I0+44+0+0+1], a[22:23]
 // Cr += Ar*Br
/*  mfmaIndex:45  */
v_mfma_f64_4x4x4f64 a[54+0:55+0], v[vgprValuB_X0_I0+0+0+0:vgprValuB_X0_I0+0+0+0+1], v[vgprValuA_X0_I0+44+0+0+2:vgprValuA_X0_I0+44+0+0+2+1], a[54:55]
 // Ci += Ai*Br
/*  mfmaIndex:46  */
v_mfma_f64_4x4x4f64 a[22+0:23+0], v[vgprValuB_X0_I0+0+0+0+2:vgprValuB_X0_I0+0+0+0+2+1], v[212:213], a[22:23]
 // Cr += -Ai*Bi
/*  mfmaIndex:47  */
/* sched write - iter 0 writesPerItem=1 */
s_waitcnt vmcnt(0)                                 // lgkmcnt=-1 vmcnt=0wait for global read before writing to local
_ds_store_b128 v[vgprLocalWriteAddrA], v[vgprG2LA+12:vgprG2LA+12+3] offset:3072 // lwoA_1_0_1_0 = (1*LSCA) + (1*LSPA)(*MT0I+PAD) = 3072
v_mfma_f64_4x4x4f64 a[54+0:55+0], v[vgprValuB_X0_I0+0+0+0+2:vgprValuB_X0_I0+0+0+0+2+1], v[vgprValuA_X0_I0+44+0+0:vgprValuA_X0_I0+44+0+0+1], a[54:55]
 // Ci += Ar*Bi
/*  mfmaIndex:48  */
v_add_f64 v[212:213], -v[vgprValuA_X0_I0+48+0+0+2:vgprValuA_X0_I0+48+0+0+2+1], 0 // Ai=-Ai
v_mfma_f64_4x4x4f64 a[24+0:25+0], v[vgprValuB_X0_I0+0+0+0:vgprValuB_X0_I0+0+0+0+1], v[vgprValuA_X0_I0+48+0+0:vgprValuA_X0_I0+48+0+0+1], a[24:25]
 // Cr += Ar*Br
/*  mfmaIndex:49  */
v_mfma_f64_4x4x4f64 a[56+0:57+0], v[vgprValuB_X0_I0+0+0+0:vgprValuB_X0_I0+0+0+0+1], v[vgprValuA_X0_I0+48+0+0+2:vgprValuA_X0_I0+48+0+0+2+1], a[56:57]
 // Ci += Ai*Br
/*  mfmaIndex:50  */
/* sched write - iter 0 writesPerItem=1 */
s_waitcnt vmcnt(0)                                 // lgkmcnt=-1 vmcnt=0wait for global read before writing to local
_ds_store_b128 v[vgprLocalWriteAddrA], v[vgprG2LA+16:vgprG2LA+16+3] offset:4096 // lwoA_0_0_2_0 = (0*LSCA) + (2*LSPA)(*MT0I+PAD) = 4096
v_mfma_f64_4x4x4f64 a[24+0:25+0], v[vgprValuB_X0_I0+0+0+0+2:vgprValuB_X0_I0+0+0+0+2+1], v[212:213], a[24:25]
 // Cr += -Ai*Bi
/*  mfmaIndex:51  */
v_mfma_f64_4x4x4f64 a[56+0:57+0], v[vgprValuB_X0_I0+0+0+0+2:vgprValuB_X0_I0+0+0+0+2+1], v[vgprValuA_X0_I0+48+0+0:vgprValuA_X0_I0+48+0+0+1], a[56:57]
 // Ci += Ar*Bi
/*  mfmaIndex:52  */
v_add_f64 v[212:213], -v[vgprValuA_X0_I0+52+0+0+2:vgprValuA_X0_I0+52+0+0+2+1], 0 // Ai=-Ai
v_mfma_f64_4x4x4f64 a[26+0:27+0], v[vgprValuB_X0_I0+0+0+0:vgprValuB_X0_I0+0+0+0+1], v[vgprValuA_X0_I0+52+0+0:vgprValuA_X0_I0+52+0+0+1], a[26:27]
 // Cr += Ar*Br
/*  mfmaIndex:53  */
/* sched write - iter 0 writesPerItem=1 */
s_waitcnt vmcnt(0)                                 // lgkmcnt=-1 vmcnt=0wait for global read before writing to local
_ds_store_b128 v[vgprLocalWriteAddrA], v[vgprG2LA+20:vgprG2LA+20+3] offset:5120 // lwoA_1_0_2_0 = (1*LSCA) + (2*LSPA)(*MT0I+PAD) = 5120
v_mfma_f64_4x4x4f64 a[58+0:59+0], v[vgprValuB_X0_I0+0+0+0:vgprValuB_X0_I0+0+0+0+1], v[vgprValuA_X0_I0+52+0+0+2:vgprValuA_X0_I0+52+0+0+2+1], a[58:59]
 // Ci += Ai*Br
/*  mfmaIndex:54  */
v_mfma_f64_4x4x4f64 a[26+0:27+0], v[vgprValuB_X0_I0+0+0+0+2:vgprValuB_X0_I0+0+0+0+2+1], v[212:213], a[26:27]
 // Cr += -Ai*Bi
/*  mfmaIndex:55  */
v_mfma_f64_4x4x4f64 a[58+0:59+0], v[vgprValuB_X0_I0+0+0+0+2:vgprValuB_X0_I0+0+0+0+2+1], v[vgprValuA_X0_I0+52+0+0:vgprValuA_X0_I0+52+0+0+1], a[58:59]
 // Ci += Ar*Bi
/*  mfmaIndex:56  */
/* sched write - iter 0 writesPerItem=1 */
s_waitcnt vmcnt(0)                                 // lgkmcnt=-1 vmcnt=0wait for global read before writing to local
_ds_store_b128 v[vgprLocalWriteAddrA], v[vgprG2LA+24:vgprG2LA+24+3] offset:6144 // lwoA_0_0_3_0 = (0*LSCA) + (3*LSPA)(*MT0I+PAD) = 6144
v_add_f64 v[212:213], -v[vgprValuA_X0_I0+56+0+0+2:vgprValuA_X0_I0+56+0+0+2+1], 0 // Ai=-Ai
v_mfma_f64_4x4x4f64 a[28+0:29+0], v[vgprValuB_X0_I0+0+0+0:vgprValuB_X0_I0+0+0+0+1], v[vgprValuA_X0_I0+56+0+0:vgprValuA_X0_I0+56+0+0+1], a[28:29]
 // Cr += Ar*Br
/*  mfmaIndex:57  */
v_mfma_f64_4x4x4f64 a[60+0:61+0], v[vgprValuB_X0_I0+0+0+0:vgprValuB_X0_I0+0+0+0+1], v[vgprValuA_X0_I0+56+0+0+2:vgprValuA_X0_I0+56+0+0+2+1], a[60:61]
 // Ci += Ai*Br
/*  mfmaIndex:58  */
v_mfma_f64_4x4x4f64 a[28+0:29+0], v[vgprValuB_X0_I0+0+0+0+2:vgprValuB_X0_I0+0+0+0+2+1], v[212:213], a[28:29]
 // Cr += -Ai*Bi
/*  mfmaIndex:59  */
/* sched write - iter 0 writesPerItem=1 */
s_waitcnt vmcnt(0)                                 // lgkmcnt=-1 vmcnt=0wait for global read before writing to local
_ds_store_b128 v[vgprLocalWriteAddrA], v[vgprG2LA+28:vgprG2LA+28+3] offset:7168 // lwoA_1_0_3_0 = (1*LSCA) + (3*LSPA)(*MT0I+PAD) = 7168
v_mfma_f64_4x4x4f64 a[60+0:61+0], v[vgprValuB_X0_I0+0+0+0+2:vgprValuB_X0_I0+0+0+0+2+1], v[vgprValuA_X0_I0+56+0+0:vgprValuA_X0_I0+56+0+0+1], a[60:61]
 // Ci += Ar*Bi
/*  mfmaIndex:60  */
v_add_f64 v[212:213], -v[vgprValuA_X0_I0+60+0+0+2:vgprValuA_X0_I0+60+0+0+2+1], 0 // Ai=-Ai
v_mfma_f64_4x4x4f64 a[30+0:31+0], v[vgprValuB_X0_I0+0+0+0:vgprValuB_X0_I0+0+0+0+1], v[vgprValuA_X0_I0+60+0+0:vgprValuA_X0_I0+60+0+0+1], a[30:31]
 // Cr += Ar*Br
/*  mfmaIndex:61  */
v_mfma_f64_4x4x4f64 a[62+0:63+0], v[vgprValuB_X0_I0+0+0+0:vgprValuB_X0_I0+0+0+0+1], v[vgprValuA_X0_I0+60+0+0+2:vgprValuA_X0_I0+60+0+0+2+1], a[62:63]
 // Ci += Ai*Br
/*  mfmaIndex:62  */
v_mfma_f64_4x4x4f64 a[30+0:31+0], v[vgprValuB_X0_I0+0+0+0+2:vgprValuB_X0_I0+0+0+0+2+1], v[212:213], a[30:31]
 // Cr += -Ai*Bi
/*  mfmaIndex:63  */
/* sched write - iter 0 writesPerItem=1 */
s_waitcnt vmcnt(0)                                 // lgkmcnt=-1 vmcnt=0wait for global read before writing to local
_ds_store_b128 v[vgprLocalWriteAddrA], v[vgprG2LA+32:vgprG2LA+32+3] offset:8192 // lwoA_0_0_4_0 = (0*LSCA) + (4*LSPA)(*MT0I+PAD) = 8192

/* local read swap offsets a */

/* local read swap offsets b */

/* local read init pointers a */

/* localReadInitPointers */

/* local read init pointers b */

/* localReadInitPointers */
v_mfma_f64_4x4x4f64 a[62+0:63+0], v[vgprValuB_X0_I0+0+0+0+2:vgprValuB_X0_I0+0+0+0+2+1], v[vgprValuA_X0_I0+60+0+0:vgprValuA_X0_I0+60+0+0+1], a[62:63]
 // Ci += Ar*Bi
/* numPrefetchIter=0 */
/* dataAtIterA=-1 numReadsIterA=1 skipReadsIterA=1 readsPerIterA=16 */
/* dataAtIterB=-1 numReadsIterB=1 skipReadsIterB=1 readsPerIterB=1 */


/* iter 1 (swap and reset local write pointers iteration)  */

/*  grEndMfmaIndex:12, lwStartMfmaIndex:38, lwEndMfmaIndex:89  */
/*  numMfmaForLR:36, barrierMfmaIndex:91, LocalWritePerMfma:0.320 */
/*  mfmaIndex:64  */
v_add_f64 v[212:213], -v[vgprValuA_X1_I0+0+0+0+2:vgprValuA_X1_I0+0+0+0+2+1], 0 // Ai=-Ai
v_mfma_f64_4x4x4f64 a[0+0:1+0], v[vgprValuB_X1_I0+0+0+0:vgprValuB_X1_I0+0+0+0+1], v[vgprValuA_X1_I0+0+0+0:vgprValuA_X1_I0+0+0+0+1], a[0:1]
 // Cr += Ar*Br
/*  mfmaIndex:65  */
v_mfma_f64_4x4x4f64 a[32+0:33+0], v[vgprValuB_X1_I0+0+0+0:vgprValuB_X1_I0+0+0+0+1], v[vgprValuA_X1_I0+0+0+0+2:vgprValuA_X1_I0+0+0+0+2+1], a[32:33]
 // Ci += Ai*Br
/*  mfmaIndex:66  */
/* sched write - iter 1 writesPerItem=1 */
s_waitcnt vmcnt(0)                                 // lgkmcnt=-1 vmcnt=0wait for global read before writing to local
_ds_store_b128 v[vgprLocalWriteAddrA], v[vgprG2LA+36:vgprG2LA+36+3] offset:9216 // lwoA_1_0_4_0 = (1*LSCA) + (4*LSPA)(*MT0I+PAD) = 9216
v_mfma_f64_4x4x4f64 a[0+0:1+0], v[vgprValuB_X1_I0+0+0+0+2:vgprValuB_X1_I0+0+0+0+2+1], v[212:213], a[0:1]
 // Cr += -Ai*Bi
/*  mfmaIndex:67  */
v_mfma_f64_4x4x4f64 a[32+0:33+0], v[vgprValuB_X1_I0+0+0+0+2:vgprValuB_X1_I0+0+0+0+2+1], v[vgprValuA_X1_I0+0+0+0:vgprValuA_X1_I0+0+0+0+1], a[32:33]
 // Ci += Ar*Bi
/*  mfmaIndex:68  */
v_add_f64 v[212:213], -v[vgprValuA_X1_I0+4+0+0+2:vgprValuA_X1_I0+4+0+0+2+1], 0 // Ai=-Ai
v_mfma_f64_4x4x4f64 a[2+0:3+0], v[vgprValuB_X1_I0+0+0+0:vgprValuB_X1_I0+0+0+0+1], v[vgprValuA_X1_I0+4+0+0:vgprValuA_X1_I0+4+0+0+1], a[2:3]
 // Cr += Ar*Br
/*  mfmaIndex:69  */
/* sched write - iter 1 writesPerItem=1 */
s_waitcnt vmcnt(0)                                 // lgkmcnt=-1 vmcnt=0wait for global read before writing to local
_ds_store_b128 v[vgprLocalWriteAddrA], v[vgprG2LA+40:vgprG2LA+40+3] offset:10240 // lwoA_0_0_5_0 = (0*LSCA) + (5*LSPA)(*MT0I+PAD) = 10240
v_mfma_f64_4x4x4f64 a[34+0:35+0], v[vgprValuB_X1_I0+0+0+0:vgprValuB_X1_I0+0+0+0+1], v[vgprValuA_X1_I0+4+0+0+2:vgprValuA_X1_I0+4+0+0+2+1], a[34:35]
 // Ci += Ai*Br
/*  mfmaIndex:70  */
v_mfma_f64_4x4x4f64 a[2+0:3+0], v[vgprValuB_X1_I0+0+0+0+2:vgprValuB_X1_I0+0+0+0+2+1], v[212:213], a[2:3]
 // Cr += -Ai*Bi
/*  mfmaIndex:71  */
v_mfma_f64_4x4x4f64 a[34+0:35+0], v[vgprValuB_X1_I0+0+0+0+2:vgprValuB_X1_I0+0+0+0+2+1], v[vgprValuA_X1_I0+4+0+0:vgprValuA_X1_I0+4+0+0+1], a[34:35]
 // Ci += Ar*Bi
/*  mfmaIndex:72  */
/* sched write - iter 1 writesPerItem=1 */
s_waitcnt vmcnt(0)                                 // lgkmcnt=-1 vmcnt=0wait for global read before writing to local
_ds_store_b128 v[vgprLocalWriteAddrA], v[vgprG2LA+44:vgprG2LA+44+3] offset:11264 // lwoA_1_0_5_0 = (1*LSCA) + (5*LSPA)(*MT0I+PAD) = 11264
v_add_f64 v[212:213], -v[vgprValuA_X1_I0+8+0+0+2:vgprValuA_X1_I0+8+0+0+2+1], 0 // Ai=-Ai
v_mfma_f64_4x4x4f64 a[4+0:5+0], v[vgprValuB_X1_I0+0+0+0:vgprValuB_X1_I0+0+0+0+1], v[vgprValuA_X1_I0+8+0+0:vgprValuA_X1_I0+8+0+0+1], a[4:5]
 // Cr += Ar*Br
/*  mfmaIndex:73  */
v_mfma_f64_4x4x4f64 a[36+0:37+0], v[vgprValuB_X1_I0+0+0+0:vgprValuB_X1_I0+0+0+0+1], v[vgprValuA_X1_I0+8+0+0+2:vgprValuA_X1_I0+8+0+0+2+1], a[36:37]
 // Ci += Ai*Br
/*  mfmaIndex:74  */
v_mfma_f64_4x4x4f64 a[4+0:5+0], v[vgprValuB_X1_I0+0+0+0+2:vgprValuB_X1_I0+0+0+0+2+1], v[212:213], a[4:5]
 // Cr += -Ai*Bi
/*  mfmaIndex:75  */
/* sched write - iter 1 writesPerItem=1 */
s_waitcnt vmcnt(0)                                 // lgkmcnt=-1 vmcnt=0wait for global read before writing to local
_ds_store_b128 v[vgprLocalWriteAddrA], v[vgprG2LA+48:vgprG2LA+48+3] offset:12288 // lwoA_0_0_6_0 = (0*LSCA) + (6*LSPA)(*MT0I+PAD) = 12288
v_mfma_f64_4x4x4f64 a[36+0:37+0], v[vgprValuB_X1_I0+0+0+0+2:vgprValuB_X1_I0+0+0+0+2+1], v[vgprValuA_X1_I0+8+0+0:vgprValuA_X1_I0+8+0+0+1], a[36:37]
 // Ci += Ar*Bi
/*  mfmaIndex:76  */
v_add_f64 v[212:213], -v[vgprValuA_X1_I0+12+0+0+2:vgprValuA_X1_I0+12+0+0+2+1], 0 // Ai=-Ai
v_mfma_f64_4x4x4f64 a[6+0:7+0], v[vgprValuB_X1_I0+0+0+0:vgprValuB_X1_I0+0+0+0+1], v[vgprValuA_X1_I0+12+0+0:vgprValuA_X1_I0+12+0+0+1], a[6:7]
 // Cr += Ar*Br
/*  mfmaIndex:77  */
v_mfma_f64_4x4x4f64 a[38+0:39+0], v[vgprValuB_X1_I0+0+0+0:vgprValuB_X1_I0+0+0+0+1], v[vgprValuA_X1_I0+12+0+0+2:vgprValuA_X1_I0+12+0+0+2+1], a[38:39]
 // Ci += Ai*Br
/*  mfmaIndex:78  */
/* sched write - iter 1 writesPerItem=1 */
s_waitcnt vmcnt(0)                                 // lgkmcnt=-1 vmcnt=0wait for global read before writing to local
_ds_store_b128 v[vgprLocalWriteAddrA], v[vgprG2LA+52:vgprG2LA+52+3] offset:13312 // lwoA_1_0_6_0 = (1*LSCA) + (6*LSPA)(*MT0I+PAD) = 13312
v_mfma_f64_4x4x4f64 a[6+0:7+0], v[vgprValuB_X1_I0+0+0+0+2:vgprValuB_X1_I0+0+0+0+2+1], v[212:213], a[6:7]
 // Cr += -Ai*Bi
/*  mfmaIndex:79  */
v_mfma_f64_4x4x4f64 a[38+0:39+0], v[vgprValuB_X1_I0+0+0+0+2:vgprValuB_X1_I0+0+0+0+2+1], v[vgprValuA_X1_I0+12+0+0:vgprValuA_X1_I0+12+0+0+1], a[38:39]
 // Ci += Ar*Bi
/*  mfmaIndex:80  */
v_add_f64 v[212:213], -v[vgprValuA_X1_I0+16+0+0+2:vgprValuA_X1_I0+16+0+0+2+1], 0 // Ai=-Ai
v_mfma_f64_4x4x4f64 a[8+0:9+0], v[vgprValuB_X1_I0+0+0+0:vgprValuB_X1_I0+0+0+0+1], v[vgprValuA_X1_I0+16+0+0:vgprValuA_X1_I0+16+0+0+1], a[8:9]
 // Cr += Ar*Br
/*  mfmaIndex:81  */
/* sched write - iter 1 writesPerItem=1 */
s_waitcnt vmcnt(0)                                 // lgkmcnt=-1 vmcnt=0wait for global read before writing to local
_ds_store_b128 v[vgprLocalWriteAddrA], v[vgprG2LA+56:vgprG2LA+56+3] offset:14336 // lwoA_0_0_7_0 = (0*LSCA) + (7*LSPA)(*MT0I+PAD) = 14336
v_mfma_f64_4x4x4f64 a[40+0:41+0], v[vgprValuB_X1_I0+0+0+0:vgprValuB_X1_I0+0+0+0+1], v[vgprValuA_X1_I0+16+0+0+2:vgprValuA_X1_I0+16+0+0+2+1], a[40:41]
 // Ci += Ai*Br
/*  mfmaIndex:82  */
v_mfma_f64_4x4x4f64 a[8+0:9+0], v[vgprValuB_X1_I0+0+0+0+2:vgprValuB_X1_I0+0+0+0+2+1], v[212:213], a[8:9]
 // Cr += -Ai*Bi
/*  mfmaIndex:83  */
v_mfma_f64_4x4x4f64 a[40+0:41+0], v[vgprValuB_X1_I0+0+0+0+2:vgprValuB_X1_I0+0+0+0+2+1], v[vgprValuA_X1_I0+16+0+0:vgprValuA_X1_I0+16+0+0+1], a[40:41]
 // Ci += Ar*Bi
/*  mfmaIndex:84  */
/* sched write - iter 1 writesPerItem=1 */
s_waitcnt vmcnt(0)                                 // lgkmcnt=-1 vmcnt=0wait for global read before writing to local
_ds_store_b128 v[vgprLocalWriteAddrA], v[vgprG2LA+60:vgprG2LA+60+3] offset:15360 // lwoA_1_0_7_0 = (1*LSCA) + (7*LSPA)(*MT0I+PAD) = 15360
v_add_f64 v[212:213], -v[vgprValuA_X1_I0+20+0+0+2:vgprValuA_X1_I0+20+0+0+2+1], 0 // Ai=-Ai
v_mfma_f64_4x4x4f64 a[10+0:11+0], v[vgprValuB_X1_I0+0+0+0:vgprValuB_X1_I0+0+0+0+1], v[vgprValuA_X1_I0+20+0+0:vgprValuA_X1_I0+20+0+0+1], a[10:11]
 // Cr += Ar*Br
/*  mfmaIndex:85  */
v_mfma_f64_4x4x4f64 a[42+0:43+0], v[vgprValuB_X1_I0+0+0+0:vgprValuB_X1_I0+0+0+0+1], v[vgprValuA_X1_I0+20+0+0+2:vgprValuA_X1_I0+20+0+0+2+1], a[42:43]
 // Ci += Ai*Br
/*  mfmaIndex:86  */
v_mfma_f64_4x4x4f64 a[10+0:11+0], v[vgprValuB_X1_I0+0+0+0+2:vgprValuB_X1_I0+0+0+0+2+1], v[212:213], a[10:11]
 // Cr += -Ai*Bi
/*  mfmaIndex:87  */
v_mfma_f64_4x4x4f64 a[42+0:43+0], v[vgprValuB_X1_I0+0+0+0+2:vgprValuB_X1_I0+0+0+0+2+1], v[vgprValuA_X1_I0+20+0+0:vgprValuA_X1_I0+20+0+0+1], a[42:43]
 // Ci += Ar*Bi
/*  mfmaIndex:88  */
/* sched write - iter 1 writesPerItem=1 */
s_waitcnt vmcnt(0)                                 // lgkmcnt=-1 vmcnt=0wait for global read before writing to local
_ds_store_b128 v[vgprLocalWriteAddrB], v[vgprG2LB+0:vgprG2LB+0+3] offset:0 // lwoB_0_0_0_0 = (0*LSCB)*(MT1J+PAD) + (0*LSPB) = 0
v_add_f64 v[212:213], -v[vgprValuA_X1_I0+24+0+0+2:vgprValuA_X1_I0+24+0+0+2+1], 0 // Ai=-Ai
v_mfma_f64_4x4x4f64 a[12+0:13+0], v[vgprValuB_X1_I0+0+0+0:vgprValuB_X1_I0+0+0+0+1], v[vgprValuA_X1_I0+24+0+0:vgprValuA_X1_I0+24+0+0+1], a[12:13]
 // Cr += Ar*Br
/*  mfmaIndex:89  */

/* local write swap offsets a */

/* local write swap offsets b */
v_mfma_f64_4x4x4f64 a[44+0:45+0], v[vgprValuB_X1_I0+0+0+0:vgprValuB_X1_I0+0+0+0+1], v[vgprValuA_X1_I0+24+0+0+2:vgprValuA_X1_I0+24+0+0+2+1], a[44:45]
 // Ci += Ai*Br
/*  mfmaIndex:90  */
v_mfma_f64_4x4x4f64 a[12+0:13+0], v[vgprValuB_X1_I0+0+0+0+2:vgprValuB_X1_I0+0+0+0+2+1], v[212:213], a[12:13]
 // Cr += -Ai*Bi
/*  mfmaIndex:91  */
s_waitcnt lgkmcnt(0)                               // lgkmcnt=0 vmcnt=-13wait for local write
// Skip barrier: NumThreads=64
v_mfma_f64_4x4x4f64 a[44+0:45+0], v[vgprValuB_X1_I0+0+0+0+2:vgprValuB_X1_I0+0+0+0+2+1], v[vgprValuA_X1_I0+24+0+0:vgprValuA_X1_I0+24+0+0+1], a[44:45]
 // Ci += Ar*Bi
/*  mfmaIndex:92  */
_ds_load_b128 v[vgprValuA_X0_I0+0:vgprValuA_X0_I0+0+3], v[vgprLocalReadAddrA] offset:0 // L -> Reg lro=0 swapByteOffset=0 ti=8 vIdx=0 rIdx=0 oIdx=0 buffer=0 iui=0
v_add_f64 v[212:213], -v[vgprValuA_X1_I0+28+0+0+2:vgprValuA_X1_I0+28+0+0+2+1], 0 // Ai=-Ai
v_mfma_f64_4x4x4f64 a[14+0:15+0], v[vgprValuB_X1_I0+0+0+0:vgprValuB_X1_I0+0+0+0+1], v[vgprValuA_X1_I0+28+0+0:vgprValuA_X1_I0+28+0+0+1], a[14:15]
 // Cr += Ar*Br
/*  mfmaIndex:93  */
_ds_load_b128 v[vgprValuB_X0_I0+0:vgprValuB_X0_I0+0+3], v[vgprLocalReadAddrB] offset:0 // L -> Reg lro=0 swapByteOffset=0 ti=8 vIdx=0 rIdx=0 oIdx=0 buffer=0 iui=0
v_mfma_f64_4x4x4f64 a[46+0:47+0], v[vgprValuB_X1_I0+0+0+0:vgprValuB_X1_I0+0+0+0+1], v[vgprValuA_X1_I0+28+0+0+2:vgprValuA_X1_I0+28+0+0+2+1], a[46:47]
 // Ci += Ai*Br
/*  mfmaIndex:94  */
_ds_load_b128 v[vgprValuA_X0_I0+4:vgprValuA_X0_I0+4+3], v[vgprLocalReadAddrA] offset:128 // L -> Reg lro=0 swapByteOffset=0 ti=8 vIdx=1 rIdx=0 oIdx=0 buffer=0 iui=0
v_mfma_f64_4x4x4f64 a[14+0:15+0], v[vgprValuB_X1_I0+0+0+0+2:vgprValuB_X1_I0+0+0+0+2+1], v[212:213], a[14:15]
 // Cr += -Ai*Bi
/*  mfmaIndex:95  */
_ds_load_b128 v[vgprValuA_X0_I0+8:vgprValuA_X0_I0+8+3], v[vgprLocalReadAddrA] offset:256 // L -> Reg lro=0 swapByteOffset=0 ti=8 vIdx=2 rIdx=0 oIdx=0 buffer=0 iui=0
v_mfma_f64_4x4x4f64 a[46+0:47+0], v[vgprValuB_X1_I0+0+0+0+2:vgprValuB_X1_I0+0+0+0+2+1], v[vgprValuA_X1_I0+28+0+0:vgprValuA_X1_I0+28+0+0+1], a[46:47]
 // Ci += Ar*Bi
/*  mfmaIndex:96  */
_ds_load_b128 v[vgprValuA_X0_I0+12:vgprValuA_X0_I0+12+3], v[vgprLocalReadAddrA] offset:384 // L -> Reg lro=0 swapByteOffset=0 ti=8 vIdx=3 rIdx=0 oIdx=0 buffer=0 iui=0
v_add_f64 v[212:213], -v[vgprValuA_X1_I0+32+0+0+2:vgprValuA_X1_I0+32+0+0+2+1], 0 // Ai=-Ai
v_mfma_f64_4x4x4f64 a[16+0:17+0], v[vgprValuB_X1_I0+0+0+0:vgprValuB_X1_I0+0+0+0+1], v[vgprValuA_X1_I0+32+0+0:vgprValuA_X1_I0+32+0+0+1], a[16:17]
 // Cr += Ar*Br
/*  mfmaIndex:97  */
_ds_load_b128 v[vgprValuA_X0_I0+16:vgprValuA_X0_I0+16+3], v[vgprLocalReadAddrA] offset:512 // L -> Reg lro=0 swapByteOffset=0 ti=8 vIdx=4 rIdx=0 oIdx=0 buffer=0 iui=0
v_mfma_f64_4x4x4f64 a[48+0:49+0], v[vgprValuB_X1_I0+0+0+0:vgprValuB_X1_I0+0+0+0+1], v[vgprValuA_X1_I0+32+0+0+2:vgprValuA_X1_I0+32+0+0+2+1], a[48:49]
 // Ci += Ai*Br
/*  mfmaIndex:98  */
_ds_load_b128 v[vgprValuA_X0_I0+20:vgprValuA_X0_I0+20+3], v[vgprLocalReadAddrA] offset:640 // L -> Reg lro=0 swapByteOffset=0 ti=8 vIdx=5 rIdx=0 oIdx=0 buffer=0 iui=0
v_mfma_f64_4x4x4f64 a[16+0:17+0], v[vgprValuB_X1_I0+0+0+0+2:vgprValuB_X1_I0+0+0+0+2+1], v[212:213], a[16:17]
 // Cr += -Ai*Bi
/*  mfmaIndex:99  */
_ds_load_b128 v[vgprValuA_X0_I0+24:vgprValuA_X0_I0+24+3], v[vgprLocalReadAddrA] offset:768 // L -> Reg lro=0 swapByteOffset=0 ti=8 vIdx=6 rIdx=0 oIdx=0 buffer=0 iui=0
v_mfma_f64_4x4x4f64 a[48+0:49+0], v[vgprValuB_X1_I0+0+0+0+2:vgprValuB_X1_I0+0+0+0+2+1], v[vgprValuA_X1_I0+32+0+0:vgprValuA_X1_I0+32+0+0+1], a[48:49]
 // Ci += Ar*Bi
/*  mfmaIndex:100  */
_ds_load_b128 v[vgprValuA_X0_I0+28:vgprValuA_X0_I0+28+3], v[vgprLocalReadAddrA] offset:896 // L -> Reg lro=0 swapByteOffset=0 ti=8 vIdx=7 rIdx=0 oIdx=0 buffer=0 iui=0
v_add_f64 v[212:213], -v[vgprValuA_X1_I0+36+0+0+2:vgprValuA_X1_I0+36+0+0+2+1], 0 // Ai=-Ai
v_mfma_f64_4x4x4f64 a[18+0:19+0], v[vgprValuB_X1_I0+0+0+0:vgprValuB_X1_I0+0+0+0+1], v[vgprValuA_X1_I0+36+0+0:vgprValuA_X1_I0+36+0+0+1], a[18:19]
 // Cr += Ar*Br
/*  mfmaIndex:101  */
_ds_load_b128 v[vgprValuA_X0_I0+32:vgprValuA_X0_I0+32+3], v[vgprLocalReadAddrA] offset:1024 // L -> Reg lro=0 swapByteOffset=0 ti=8 vIdx=8 rIdx=0 oIdx=0 buffer=0 iui=0
	;; [unrolled: 17-line block ×3, first 2 shown]
v_mfma_f64_4x4x4f64 a[52+0:53+0], v[vgprValuB_X1_I0+0+0+0:vgprValuB_X1_I0+0+0+0+1], v[vgprValuA_X1_I0+40+0+0+2:vgprValuA_X1_I0+40+0+0+2+1], a[52:53]
 // Ci += Ai*Br
/*  mfmaIndex:106  */
_ds_load_b128 v[vgprValuA_X0_I0+52:vgprValuA_X0_I0+52+3], v[vgprLocalReadAddrA] offset:1664 // L -> Reg lro=0 swapByteOffset=0 ti=8 vIdx=13 rIdx=0 oIdx=0 buffer=0 iui=0
v_mfma_f64_4x4x4f64 a[20+0:21+0], v[vgprValuB_X1_I0+0+0+0+2:vgprValuB_X1_I0+0+0+0+2+1], v[212:213], a[20:21]
 // Cr += -Ai*Bi
/*  mfmaIndex:107  */
_ds_load_b128 v[vgprValuA_X0_I0+56:vgprValuA_X0_I0+56+3], v[vgprLocalReadAddrA] offset:1792 // L -> Reg lro=0 swapByteOffset=0 ti=8 vIdx=14 rIdx=0 oIdx=0 buffer=0 iui=0
v_mfma_f64_4x4x4f64 a[52+0:53+0], v[vgprValuB_X1_I0+0+0+0+2:vgprValuB_X1_I0+0+0+0+2+1], v[vgprValuA_X1_I0+40+0+0:vgprValuA_X1_I0+40+0+0+1], a[52:53]
 // Ci += Ar*Bi
/*  mfmaIndex:108  */
_ds_load_b128 v[vgprValuA_X0_I0+60:vgprValuA_X0_I0+60+3], v[vgprLocalReadAddrA] offset:1920 // L -> Reg lro=0 swapByteOffset=0 ti=8 vIdx=15 rIdx=0 oIdx=0 buffer=0 iui=0
v_add_f64 v[212:213], -v[vgprValuA_X1_I0+44+0+0+2:vgprValuA_X1_I0+44+0+0+2+1], 0 // Ai=-Ai
v_mfma_f64_4x4x4f64 a[22+0:23+0], v[vgprValuB_X1_I0+0+0+0:vgprValuB_X1_I0+0+0+0+1], v[vgprValuA_X1_I0+44+0+0:vgprValuA_X1_I0+44+0+0+1], a[22:23]
 // Cr += Ar*Br
/*  mfmaIndex:109  */
v_mfma_f64_4x4x4f64 a[54+0:55+0], v[vgprValuB_X1_I0+0+0+0:vgprValuB_X1_I0+0+0+0+1], v[vgprValuA_X1_I0+44+0+0+2:vgprValuA_X1_I0+44+0+0+2+1], a[54:55]
 // Ci += Ai*Br
/*  mfmaIndex:110  */
v_mfma_f64_4x4x4f64 a[22+0:23+0], v[vgprValuB_X1_I0+0+0+0+2:vgprValuB_X1_I0+0+0+0+2+1], v[212:213], a[22:23]
 // Cr += -Ai*Bi
/*  mfmaIndex:111  */
v_mfma_f64_4x4x4f64 a[54+0:55+0], v[vgprValuB_X1_I0+0+0+0+2:vgprValuB_X1_I0+0+0+0+2+1], v[vgprValuA_X1_I0+44+0+0:vgprValuA_X1_I0+44+0+0+1], a[54:55]
 // Ci += Ar*Bi
/*  mfmaIndex:112  */
v_add_f64 v[212:213], -v[vgprValuA_X1_I0+48+0+0+2:vgprValuA_X1_I0+48+0+0+2+1], 0 // Ai=-Ai
v_mfma_f64_4x4x4f64 a[24+0:25+0], v[vgprValuB_X1_I0+0+0+0:vgprValuB_X1_I0+0+0+0+1], v[vgprValuA_X1_I0+48+0+0:vgprValuA_X1_I0+48+0+0+1], a[24:25]
 // Cr += Ar*Br
/*  mfmaIndex:113  */
v_mfma_f64_4x4x4f64 a[56+0:57+0], v[vgprValuB_X1_I0+0+0+0:vgprValuB_X1_I0+0+0+0+1], v[vgprValuA_X1_I0+48+0+0+2:vgprValuA_X1_I0+48+0+0+2+1], a[56:57]
 // Ci += Ai*Br
/*  mfmaIndex:114  */
v_mfma_f64_4x4x4f64 a[24+0:25+0], v[vgprValuB_X1_I0+0+0+0+2:vgprValuB_X1_I0+0+0+0+2+1], v[212:213], a[24:25]
 // Cr += -Ai*Bi
/*  mfmaIndex:115  */
v_mfma_f64_4x4x4f64 a[56+0:57+0], v[vgprValuB_X1_I0+0+0+0+2:vgprValuB_X1_I0+0+0+0+2+1], v[vgprValuA_X1_I0+48+0+0:vgprValuA_X1_I0+48+0+0+1], a[56:57]
 // Ci += Ar*Bi
/*  mfmaIndex:116  */
	;; [unrolled: 13-line block ×4, first 2 shown]
v_add_f64 v[212:213], -v[vgprValuA_X1_I0+60+0+0+2:vgprValuA_X1_I0+60+0+0+2+1], 0 // Ai=-Ai
v_mfma_f64_4x4x4f64 a[30+0:31+0], v[vgprValuB_X1_I0+0+0+0:vgprValuB_X1_I0+0+0+0+1], v[vgprValuA_X1_I0+60+0+0:vgprValuA_X1_I0+60+0+0+1], a[30:31]
 // Cr += Ar*Br
/*  mfmaIndex:125  */
v_mfma_f64_4x4x4f64 a[62+0:63+0], v[vgprValuB_X1_I0+0+0+0:vgprValuB_X1_I0+0+0+0+1], v[vgprValuA_X1_I0+60+0+0+2:vgprValuA_X1_I0+60+0+0+2+1], a[62:63]
 // Ci += Ai*Br
/*  mfmaIndex:126  */
v_mfma_f64_4x4x4f64 a[30+0:31+0], v[vgprValuB_X1_I0+0+0+0+2:vgprValuB_X1_I0+0+0+0+2+1], v[212:213], a[30:31]
 // Cr += -Ai*Bi
/*  mfmaIndex:127  */
v_mfma_f64_4x4x4f64 a[62+0:63+0], v[vgprValuB_X1_I0+0+0+0+2:vgprValuB_X1_I0+0+0+0+2+1], v[vgprValuA_X1_I0+60+0+0:vgprValuA_X1_I0+60+0+0+1], a[62:63]
 // Ci += Ar*Bi

label_0014:


/******************************************/
/* Opt. NoLoadLoop Without PAP - Begin                                      */
/******************************************/

s_mov_b32 s32, s[sgprBeta+0]                       // tmp = Beta[0]
s_or_b32 s32, s[sgprBeta+1], s32                   // tmp |= Beta[1] 
s_or_b32 s32, s[sgprBeta+2], s32                   // tmp |= Beta[2] 
	;; [unrolled: 1-line block ×3, first 2 shown]
s_cmpk_eq_u32 s32, 0x0                             // Beta == 0
s_cbranch_scc0 OptNLL_End_17                       // Branch if Beta is not zero

s_mov_b32 s32, 0x00000000                          // lsb of real part of 1.0
s_mov_b32 s33, 0x3ff00000                          // msb of real part of 1.0
s_cmp_eq_u64 s[sgprAlpha:sgprAlpha+1], s[32:33]    // Alpha.real == 1.0 ?
s_cbranch_scc0 OptNLL_End_17                       // branch if alpha.real != 1
s_mov_b32 s32, 0x00000000                          // lsb of imag part of 0.0
s_mov_b32 s33, 0x00000000                          // msb of imag part of 0.0
s_cmp_eq_u64 s[sgprAlpha+2:sgprAlpha+2+1], s[32:33] // Alpha.imag == 0.0 ?
s_cbranch_scc0 OptNLL_End_17                       // branch if alpha != 1

s_and_b32 s32, 127, s[sgprSizeI]                   // s32 = s[sgprSizeI] % 128
s_add_u32 s33, -0x1, s[sgprNumWorkGroups0]         // 
s_cmp_ge_u32 s[sgprWorkGroup0], s33                // wg0 >= nwg0-1 ?
s_cselect_b32 s32, s32, 0                          // set rMT0
s_cmpk_gt_u32 s32, 0x0                             // rMT0 > 0
s_cbranch_scc1 OptNLL_End_17                       // jump if edges required
s_and_b32 s32, 7, s[sgprSizeJ]                     // s32 = s[sgprSizeJ] % 8
s_add_u32 s33, -0x1, s[sgprNumWorkGroups1]         // 
s_cmp_ge_u32 s[sgprWorkGroup1], s33                // wg1 >= nwg1-1
s_cselect_b32 s32, s32, 0                          // set rMT1
s_cmpk_gt_u32 s32, 0x0                             // rMT1 > 0
s_cbranch_scc1 OptNLL_End_17                       // jump if edges required


	;; [unrolled: 1-line block ×3, first 2 shown]
/* Tail Loop in NoLoadLoop */
//numIterL = (((sizeL % LOCAL_DEPTHU) + LOCAL_SPLITU - 1) / LOCAL_SPLITU)
s_and_b32 s[sgprLoopCounterL], 7, s[sgprSizesSum+0] // s[sgprLoopCounterL] = s[sgprSizesSum+0] % 8
s_cmp_eq_u32 s[sgprLoopCounterL], 0x0              // numIterL == 0
s_cmov_b32 s[sgprLoopCounterL], 0x8                // Convert 0 to DepthU in tail loop NLL case


	;; [unrolled: 1-line block ×3, first 2 shown]
/* iter 0 (last unrolled loop) */

/*  grEndMfmaIndex:0, lwStartMfmaIndex:89, lwEndMfmaIndex:89  */
/*  numMfmaForLR:36, barrierMfmaIndex:91, LocalWritePerMfma:0.320 */
/*  mfmaIndex:0  */
s_waitcnt lgkmcnt(0)                               // lgkmcnt=0 vmcnt=-1wait for prior local read local write old=0, new=0 newLW=0 newLR=0

/* tail loop mfma iter 0: numReadsIterCoalescedA=1, numReadsIterCoalescedB=1 */
v_and_b32 v211, 63, v[vgprSerial]                  // v211 = v[vgprSerial] % 64
v_lshrrev_b32 v211, 4, v211                        // v211 = v211 / 16
                                                   // v211 = v211 * 1 (multiplier is 1, do nothing)
v_cmp_ge_i32 s[32:33], v211, s[sgprLoopCounterL]   // check K index >= Size L
v_cndmask_b32 v[vgprValuB_X0_I0+0+0+0+0], v[vgprValuB_X0_I0+0+0+0+0], 0x0, s[32:33] // set 0 if K_idx >= sizeL
v_cndmask_b32 v[vgprValuB_X0_I0+0+0+0+1], v[vgprValuB_X0_I0+0+0+0+1], 0x0, s[32:33] // set 0 if K_idx >= sizeL
	;; [unrolled: 1-line block ×4, first 2 shown]
s_nop 1
v_add_f64 v[212:213], -v[vgprValuA_X0_I0+0+0+0+2:vgprValuA_X0_I0+0+0+0+2+1], 0 // Ai=-Ai
v_mfma_f64_4x4x4f64 a[0+0:1+0], v[vgprValuB_X0_I0+0+0+0:vgprValuB_X0_I0+0+0+0+1], v[vgprValuA_X0_I0+0+0+0:vgprValuA_X0_I0+0+0+0+1], a[0:1]
 // Cr += Ar*Br
/*  mfmaIndex:1  */
_ds_load_b128 v[vgprValuA_X1_I0+0:vgprValuA_X1_I0+0+3], v[vgprLocalReadAddrA] offset:8192 // L -> Reg lro=512 swapByteOffset=0 ti=8 vIdx=0 rIdx=0 oIdx=0 buffer=1 iui=0
v_mfma_f64_4x4x4f64 a[32+0:33+0], v[vgprValuB_X0_I0+0+0+0:vgprValuB_X0_I0+0+0+0+1], v[vgprValuA_X0_I0+0+0+0+2:vgprValuA_X0_I0+0+0+0+2+1], a[32:33]
 // Ci += Ai*Br
/*  mfmaIndex:2  */
_ds_load_b128 v[vgprValuB_X1_I0+0:vgprValuB_X1_I0+0+3], v[vgprLocalReadAddrB] offset:64 // L -> Reg lro=4 swapByteOffset=0 ti=8 vIdx=0 rIdx=0 oIdx=0 buffer=1 iui=0
v_mfma_f64_4x4x4f64 a[0+0:1+0], v[vgprValuB_X0_I0+0+0+0+2:vgprValuB_X0_I0+0+0+0+2+1], v[212:213], a[0:1]
 // Cr += -Ai*Bi
/*  mfmaIndex:3  */
_ds_load_b128 v[vgprValuA_X1_I0+4:vgprValuA_X1_I0+4+3], v[vgprLocalReadAddrA] offset:8320 // L -> Reg lro=512 swapByteOffset=0 ti=8 vIdx=1 rIdx=0 oIdx=0 buffer=1 iui=0
v_mfma_f64_4x4x4f64 a[32+0:33+0], v[vgprValuB_X0_I0+0+0+0+2:vgprValuB_X0_I0+0+0+0+2+1], v[vgprValuA_X0_I0+0+0+0:vgprValuA_X0_I0+0+0+0+1], a[32:33]
 // Ci += Ar*Bi
/*  mfmaIndex:4  */
_ds_load_b128 v[vgprValuA_X1_I0+8:vgprValuA_X1_I0+8+3], v[vgprLocalReadAddrA] offset:8448 // L -> Reg lro=512 swapByteOffset=0 ti=8 vIdx=2 rIdx=0 oIdx=0 buffer=1 iui=0
v_add_f64 v[212:213], -v[vgprValuA_X0_I0+4+0+0+2:vgprValuA_X0_I0+4+0+0+2+1], 0 // Ai=-Ai
v_mfma_f64_4x4x4f64 a[2+0:3+0], v[vgprValuB_X0_I0+0+0+0:vgprValuB_X0_I0+0+0+0+1], v[vgprValuA_X0_I0+4+0+0:vgprValuA_X0_I0+4+0+0+1], a[2:3]
 // Cr += Ar*Br
/*  mfmaIndex:5  */
_ds_load_b128 v[vgprValuA_X1_I0+12:vgprValuA_X1_I0+12+3], v[vgprLocalReadAddrA] offset:8576 // L -> Reg lro=512 swapByteOffset=0 ti=8 vIdx=3 rIdx=0 oIdx=0 buffer=1 iui=0
v_mfma_f64_4x4x4f64 a[34+0:35+0], v[vgprValuB_X0_I0+0+0+0:vgprValuB_X0_I0+0+0+0+1], v[vgprValuA_X0_I0+4+0+0+2:vgprValuA_X0_I0+4+0+0+2+1], a[34:35]
 // Ci += Ai*Br
/*  mfmaIndex:6  */
_ds_load_b128 v[vgprValuA_X1_I0+16:vgprValuA_X1_I0+16+3], v[vgprLocalReadAddrA] offset:8704 // L -> Reg lro=512 swapByteOffset=0 ti=8 vIdx=4 rIdx=0 oIdx=0 buffer=1 iui=0
v_mfma_f64_4x4x4f64 a[2+0:3+0], v[vgprValuB_X0_I0+0+0+0+2:vgprValuB_X0_I0+0+0+0+2+1], v[212:213], a[2:3]
 // Cr += -Ai*Bi
/*  mfmaIndex:7  */
_ds_load_b128 v[vgprValuA_X1_I0+20:vgprValuA_X1_I0+20+3], v[vgprLocalReadAddrA] offset:8832 // L -> Reg lro=512 swapByteOffset=0 ti=8 vIdx=5 rIdx=0 oIdx=0 buffer=1 iui=0
v_mfma_f64_4x4x4f64 a[34+0:35+0], v[vgprValuB_X0_I0+0+0+0+2:vgprValuB_X0_I0+0+0+0+2+1], v[vgprValuA_X0_I0+4+0+0:vgprValuA_X0_I0+4+0+0+1], a[34:35]
 // Ci += Ar*Bi
/*  mfmaIndex:8  */
_ds_load_b128 v[vgprValuA_X1_I0+24:vgprValuA_X1_I0+24+3], v[vgprLocalReadAddrA] offset:8960 // L -> Reg lro=512 swapByteOffset=0 ti=8 vIdx=6 rIdx=0 oIdx=0 buffer=1 iui=0
v_add_f64 v[212:213], -v[vgprValuA_X0_I0+8+0+0+2:vgprValuA_X0_I0+8+0+0+2+1], 0 // Ai=-Ai
v_mfma_f64_4x4x4f64 a[4+0:5+0], v[vgprValuB_X0_I0+0+0+0:vgprValuB_X0_I0+0+0+0+1], v[vgprValuA_X0_I0+8+0+0:vgprValuA_X0_I0+8+0+0+1], a[4:5]
 // Cr += Ar*Br
/*  mfmaIndex:9  */
_ds_load_b128 v[vgprValuA_X1_I0+28:vgprValuA_X1_I0+28+3], v[vgprLocalReadAddrA] offset:9088 // L -> Reg lro=512 swapByteOffset=0 ti=8 vIdx=7 rIdx=0 oIdx=0 buffer=1 iui=0
v_mfma_f64_4x4x4f64 a[36+0:37+0], v[vgprValuB_X0_I0+0+0+0:vgprValuB_X0_I0+0+0+0+1], v[vgprValuA_X0_I0+8+0+0+2:vgprValuA_X0_I0+8+0+0+2+1], a[36:37]
 // Ci += Ai*Br
/*  mfmaIndex:10  */
_ds_load_b128 v[vgprValuA_X1_I0+32:vgprValuA_X1_I0+32+3], v[vgprLocalReadAddrA] offset:9216 // L -> Reg lro=512 swapByteOffset=0 ti=8 vIdx=8 rIdx=0 oIdx=0 buffer=1 iui=0
	;; [unrolled: 17-line block ×3, first 2 shown]
v_mfma_f64_4x4x4f64 a[6+0:7+0], v[vgprValuB_X0_I0+0+0+0+2:vgprValuB_X0_I0+0+0+0+2+1], v[212:213], a[6:7]
 // Cr += -Ai*Bi
/*  mfmaIndex:15  */
_ds_load_b128 v[vgprValuA_X1_I0+52:vgprValuA_X1_I0+52+3], v[vgprLocalReadAddrA] offset:9856 // L -> Reg lro=512 swapByteOffset=0 ti=8 vIdx=13 rIdx=0 oIdx=0 buffer=1 iui=0
v_mfma_f64_4x4x4f64 a[38+0:39+0], v[vgprValuB_X0_I0+0+0+0+2:vgprValuB_X0_I0+0+0+0+2+1], v[vgprValuA_X0_I0+12+0+0:vgprValuA_X0_I0+12+0+0+1], a[38:39]
 // Ci += Ar*Bi
/*  mfmaIndex:16  */
_ds_load_b128 v[vgprValuA_X1_I0+56:vgprValuA_X1_I0+56+3], v[vgprLocalReadAddrA] offset:9984 // L -> Reg lro=512 swapByteOffset=0 ti=8 vIdx=14 rIdx=0 oIdx=0 buffer=1 iui=0
v_add_f64 v[212:213], -v[vgprValuA_X0_I0+16+0+0+2:vgprValuA_X0_I0+16+0+0+2+1], 0 // Ai=-Ai
v_mfma_f64_4x4x4f64 a[8+0:9+0], v[vgprValuB_X0_I0+0+0+0:vgprValuB_X0_I0+0+0+0+1], v[vgprValuA_X0_I0+16+0+0:vgprValuA_X0_I0+16+0+0+1], a[8:9]
 // Cr += Ar*Br
/*  mfmaIndex:17  */
_ds_load_b128 v[vgprValuA_X1_I0+60:vgprValuA_X1_I0+60+3], v[vgprLocalReadAddrA] offset:10112 // L -> Reg lro=512 swapByteOffset=0 ti=8 vIdx=15 rIdx=0 oIdx=0 buffer=1 iui=0
v_mfma_f64_4x4x4f64 a[40+0:41+0], v[vgprValuB_X0_I0+0+0+0:vgprValuB_X0_I0+0+0+0+1], v[vgprValuA_X0_I0+16+0+0+2:vgprValuA_X0_I0+16+0+0+2+1], a[40:41]
 // Ci += Ai*Br
/*  mfmaIndex:18  */
/* localReadsVacancy: latencyLeft 1 */
v_mfma_f64_4x4x4f64 a[8+0:9+0], v[vgprValuB_X0_I0+0+0+0+2:vgprValuB_X0_I0+0+0+0+2+1], v[212:213], a[8:9]
 // Cr += -Ai*Bi
/*  mfmaIndex:19  */
/* localReadsVacancy: latencyLeft 1 */
v_mfma_f64_4x4x4f64 a[40+0:41+0], v[vgprValuB_X0_I0+0+0+0+2:vgprValuB_X0_I0+0+0+0+2+1], v[vgprValuA_X0_I0+16+0+0:vgprValuA_X0_I0+16+0+0+1], a[40:41]
 // Ci += Ar*Bi
/*  mfmaIndex:20  */
/* localReadsVacancy: latencyLeft 1 */
v_add_f64 v[212:213], -v[vgprValuA_X0_I0+20+0+0+2:vgprValuA_X0_I0+20+0+0+2+1], 0 // Ai=-Ai
v_mfma_f64_4x4x4f64 a[10+0:11+0], v[vgprValuB_X0_I0+0+0+0:vgprValuB_X0_I0+0+0+0+1], v[vgprValuA_X0_I0+20+0+0:vgprValuA_X0_I0+20+0+0+1], a[10:11]
 // Cr += Ar*Br
/*  mfmaIndex:21  */
/* localReadsVacancy: latencyLeft 1 */
v_mfma_f64_4x4x4f64 a[42+0:43+0], v[vgprValuB_X0_I0+0+0+0:vgprValuB_X0_I0+0+0+0+1], v[vgprValuA_X0_I0+20+0+0+2:vgprValuA_X0_I0+20+0+0+2+1], a[42:43]
 // Ci += Ai*Br
/*  mfmaIndex:22  */
/* localReadsVacancy: latencyLeft 1 */
v_mfma_f64_4x4x4f64 a[10+0:11+0], v[vgprValuB_X0_I0+0+0+0+2:vgprValuB_X0_I0+0+0+0+2+1], v[212:213], a[10:11]
 // Cr += -Ai*Bi
/*  mfmaIndex:23  */
/* localReadsVacancy: latencyLeft 1 */
v_mfma_f64_4x4x4f64 a[42+0:43+0], v[vgprValuB_X0_I0+0+0+0+2:vgprValuB_X0_I0+0+0+0+2+1], v[vgprValuA_X0_I0+20+0+0:vgprValuA_X0_I0+20+0+0+1], a[42:43]
 // Ci += Ar*Bi
/*  mfmaIndex:24  */
/* localReadsVacancy: latencyLeft 1 */
v_add_f64 v[212:213], -v[vgprValuA_X0_I0+24+0+0+2:vgprValuA_X0_I0+24+0+0+2+1], 0 // Ai=-Ai
v_mfma_f64_4x4x4f64 a[12+0:13+0], v[vgprValuB_X0_I0+0+0+0:vgprValuB_X0_I0+0+0+0+1], v[vgprValuA_X0_I0+24+0+0:vgprValuA_X0_I0+24+0+0+1], a[12:13]
 // Cr += Ar*Br
/*  mfmaIndex:25  */
/* localReadsVacancy: latencyLeft 1 */
	;; [unrolled: 17-line block ×11, first 2 shown]
v_mfma_f64_4x4x4f64 a[62+0:63+0], v[vgprValuB_X0_I0+0+0+0:vgprValuB_X0_I0+0+0+0+1], v[vgprValuA_X0_I0+60+0+0+2:vgprValuA_X0_I0+60+0+0+2+1], a[62:63]
 // Ci += Ai*Br
/*  mfmaIndex:62  */
/* localReadsVacancy: latencyLeft 1 */
v_mfma_f64_4x4x4f64 a[30+0:31+0], v[vgprValuB_X0_I0+0+0+0+2:vgprValuB_X0_I0+0+0+0+2+1], v[212:213], a[30:31]
 // Cr += -Ai*Bi
/*  mfmaIndex:63  */
/* localReadsVacancy: latencyLeft 1 */
v_mfma_f64_4x4x4f64 a[62+0:63+0], v[vgprValuB_X0_I0+0+0+0+2:vgprValuB_X0_I0+0+0+0+2+1], v[vgprValuA_X0_I0+60+0+0:vgprValuA_X0_I0+60+0+0+1], a[62:63]
 // Ci += Ar*Bi
/* numPrefetchIter=0 */
/* dataAtIterA=-1 numReadsIterA=1 skipReadsIterA=1 readsPerIterA=16 */
/* dataAtIterB=-1 numReadsIterB=1 skipReadsIterB=1 readsPerIterB=1 */


/* closeLoop loopL finalLoop=0 tailLoop=1 */
s_sub_i32 s[sgprLoopCounterL], s[sgprLoopCounterL], 0x4 // dec counterL (tailLoop)
s_add_u32 s[sgprOrigLoopCounter], s[sgprOrigLoopCounter], 0x4 // inc counterL
s_cmp_le_i32 s[sgprLoopCounterL], 0x0              // counterL<=0
s_cbranch_scc1 TailLoopEndL_OptNLL_19              // exit LoopL


/* iter 1 (last unrolled loop) */

/*  grEndMfmaIndex:0, lwStartMfmaIndex:89, lwEndMfmaIndex:89  */
/*  numMfmaForLR:36, barrierMfmaIndex:91, LocalWritePerMfma:0.320 */
/*  mfmaIndex:64  */
s_waitcnt lgkmcnt(0)                               // lgkmcnt=0 vmcnt=-1wait for prior local read local write old=0, new=0 newLW=0 newLR=0

/* tail loop mfma iter 1: numReadsIterCoalescedA=1, numReadsIterCoalescedB=1 */
v_and_b32 v211, 63, v[vgprSerial]                  // v211 = v[vgprSerial] % 64
v_lshrrev_b32 v211, 4, v211                        // v211 = v211 / 16
                                                   // v211 = v211 * 1 (multiplier is 1, do nothing)
v_cmp_ge_i32 s[32:33], v211, s[sgprLoopCounterL]   // check K index >= Size L
v_cndmask_b32 v[vgprValuB_X1_I0+0+0+0+0], v[vgprValuB_X1_I0+0+0+0+0], 0x0, s[32:33] // set 0 if K_idx >= sizeL
v_cndmask_b32 v[vgprValuB_X1_I0+0+0+0+1], v[vgprValuB_X1_I0+0+0+0+1], 0x0, s[32:33] // set 0 if K_idx >= sizeL
	;; [unrolled: 1-line block ×4, first 2 shown]
s_nop 1
v_add_f64 v[212:213], -v[vgprValuA_X1_I0+0+0+0+2:vgprValuA_X1_I0+0+0+0+2+1], 0 // Ai=-Ai
v_mfma_f64_4x4x4f64 a[0+0:1+0], v[vgprValuB_X1_I0+0+0+0:vgprValuB_X1_I0+0+0+0+1], v[vgprValuA_X1_I0+0+0+0:vgprValuA_X1_I0+0+0+0+1], a[0:1]
 // Cr += Ar*Br
/*  mfmaIndex:65  */
v_mfma_f64_4x4x4f64 a[32+0:33+0], v[vgprValuB_X1_I0+0+0+0:vgprValuB_X1_I0+0+0+0+1], v[vgprValuA_X1_I0+0+0+0+2:vgprValuA_X1_I0+0+0+0+2+1], a[32:33]
 // Ci += Ai*Br
/*  mfmaIndex:66  */
v_mfma_f64_4x4x4f64 a[0+0:1+0], v[vgprValuB_X1_I0+0+0+0+2:vgprValuB_X1_I0+0+0+0+2+1], v[212:213], a[0:1]
 // Cr += -Ai*Bi
/*  mfmaIndex:67  */
v_mfma_f64_4x4x4f64 a[32+0:33+0], v[vgprValuB_X1_I0+0+0+0+2:vgprValuB_X1_I0+0+0+0+2+1], v[vgprValuA_X1_I0+0+0+0:vgprValuA_X1_I0+0+0+0+1], a[32:33]
 // Ci += Ar*Bi
/*  mfmaIndex:68  */
v_add_f64 v[212:213], -v[vgprValuA_X1_I0+4+0+0+2:vgprValuA_X1_I0+4+0+0+2+1], 0 // Ai=-Ai
v_mfma_f64_4x4x4f64 a[2+0:3+0], v[vgprValuB_X1_I0+0+0+0:vgprValuB_X1_I0+0+0+0+1], v[vgprValuA_X1_I0+4+0+0:vgprValuA_X1_I0+4+0+0+1], a[2:3]
 // Cr += Ar*Br
/*  mfmaIndex:69  */
v_mfma_f64_4x4x4f64 a[34+0:35+0], v[vgprValuB_X1_I0+0+0+0:vgprValuB_X1_I0+0+0+0+1], v[vgprValuA_X1_I0+4+0+0+2:vgprValuA_X1_I0+4+0+0+2+1], a[34:35]
 // Ci += Ai*Br
/*  mfmaIndex:70  */
v_mfma_f64_4x4x4f64 a[2+0:3+0], v[vgprValuB_X1_I0+0+0+0+2:vgprValuB_X1_I0+0+0+0+2+1], v[212:213], a[2:3]
 // Cr += -Ai*Bi
/*  mfmaIndex:71  */
v_mfma_f64_4x4x4f64 a[34+0:35+0], v[vgprValuB_X1_I0+0+0+0+2:vgprValuB_X1_I0+0+0+0+2+1], v[vgprValuA_X1_I0+4+0+0:vgprValuA_X1_I0+4+0+0+1], a[34:35]
 // Ci += Ar*Bi
/*  mfmaIndex:72  */
	;; [unrolled: 13-line block ×6, first 2 shown]
/* 1 LDS buffer: read-sync-write */
s_waitcnt lgkmcnt(0)                               // 
s_barrier                                          // 
v_add_f64 v[212:213], -v[vgprValuA_X1_I0+24+0+0+2:vgprValuA_X1_I0+24+0+0+2+1], 0 // Ai=-Ai
v_mfma_f64_4x4x4f64 a[12+0:13+0], v[vgprValuB_X1_I0+0+0+0:vgprValuB_X1_I0+0+0+0+1], v[vgprValuA_X1_I0+24+0+0:vgprValuA_X1_I0+24+0+0+1], a[12:13]
 // Cr += Ar*Br
/*  mfmaIndex:89  */
v_mfma_f64_4x4x4f64 a[44+0:45+0], v[vgprValuB_X1_I0+0+0+0:vgprValuB_X1_I0+0+0+0+1], v[vgprValuA_X1_I0+24+0+0+2:vgprValuA_X1_I0+24+0+0+2+1], a[44:45]
 // Ci += Ai*Br
/*  mfmaIndex:90  */
v_mfma_f64_4x4x4f64 a[12+0:13+0], v[vgprValuB_X1_I0+0+0+0+2:vgprValuB_X1_I0+0+0+0+2+1], v[212:213], a[12:13]
 // Cr += -Ai*Bi
/*  mfmaIndex:91  */
v_mfma_f64_4x4x4f64 a[44+0:45+0], v[vgprValuB_X1_I0+0+0+0+2:vgprValuB_X1_I0+0+0+0+2+1], v[vgprValuA_X1_I0+24+0+0:vgprValuA_X1_I0+24+0+0+1], a[44:45]
 // Ci += Ar*Bi
/*  mfmaIndex:92  */
v_add_f64 v[212:213], -v[vgprValuA_X1_I0+28+0+0+2:vgprValuA_X1_I0+28+0+0+2+1], 0 // Ai=-Ai
v_mfma_f64_4x4x4f64 a[14+0:15+0], v[vgprValuB_X1_I0+0+0+0:vgprValuB_X1_I0+0+0+0+1], v[vgprValuA_X1_I0+28+0+0:vgprValuA_X1_I0+28+0+0+1], a[14:15]
 // Cr += Ar*Br
/*  mfmaIndex:93  */
v_mfma_f64_4x4x4f64 a[46+0:47+0], v[vgprValuB_X1_I0+0+0+0:vgprValuB_X1_I0+0+0+0+1], v[vgprValuA_X1_I0+28+0+0+2:vgprValuA_X1_I0+28+0+0+2+1], a[46:47]
 // Ci += Ai*Br
/*  mfmaIndex:94  */
v_mfma_f64_4x4x4f64 a[14+0:15+0], v[vgprValuB_X1_I0+0+0+0+2:vgprValuB_X1_I0+0+0+0+2+1], v[212:213], a[14:15]
 // Cr += -Ai*Bi
/*  mfmaIndex:95  */
v_mfma_f64_4x4x4f64 a[46+0:47+0], v[vgprValuB_X1_I0+0+0+0+2:vgprValuB_X1_I0+0+0+0+2+1], v[vgprValuA_X1_I0+28+0+0:vgprValuA_X1_I0+28+0+0+1], a[46:47]
 // Ci += Ar*Bi
/*  mfmaIndex:96  */
	;; [unrolled: 13-line block ×9, first 2 shown]
v_add_f64 v[212:213], -v[vgprValuA_X1_I0+60+0+0+2:vgprValuA_X1_I0+60+0+0+2+1], 0 // Ai=-Ai
v_mfma_f64_4x4x4f64 a[30+0:31+0], v[vgprValuB_X1_I0+0+0+0:vgprValuB_X1_I0+0+0+0+1], v[vgprValuA_X1_I0+60+0+0:vgprValuA_X1_I0+60+0+0+1], a[30:31]
 // Cr += Ar*Br
/*  mfmaIndex:125  */
v_mfma_f64_4x4x4f64 a[62+0:63+0], v[vgprValuB_X1_I0+0+0+0:vgprValuB_X1_I0+0+0+0+1], v[vgprValuA_X1_I0+60+0+0+2:vgprValuA_X1_I0+60+0+0+2+1], a[62:63]
 // Ci += Ai*Br
/*  mfmaIndex:126  */
v_mfma_f64_4x4x4f64 a[30+0:31+0], v[vgprValuB_X1_I0+0+0+0+2:vgprValuB_X1_I0+0+0+0+2+1], v[212:213], a[30:31]
 // Cr += -Ai*Bi
/*  mfmaIndex:127  */
v_mfma_f64_4x4x4f64 a[62+0:63+0], v[vgprValuB_X1_I0+0+0+0+2:vgprValuB_X1_I0+0+0+0+2+1], v[vgprValuA_X1_I0+60+0+0:vgprValuA_X1_I0+60+0+0+1], a[62:63]
 // Ci += Ar*Bi
/* numPrefetchIter=0 */
/* dataAtIterA=0 numReadsIterA=1 skipReadsIterA=0 readsPerIterA=16 */
/* dataAtIterB=0 numReadsIterB=1 skipReadsIterB=0 readsPerIterB=1 */

TailLoopEndL_OptNLL_19:

s_waitcnt lgkmcnt(0)                               // lgkmcnt=0 vmcnt=-113wait for remaining local read for tail loop in NLL

/* Stores for OptNLL */
Summation_End_OptNLL_22:
/* endSummation: add vgpr [0...208) to pool */
.set NumFullBlocks, UNDEF
.set WgmRemainder1, UNDEF
.set MagicNumberWgmRemainder1, UNDEF
.set ScalarGlobalReadOffsetA, UNDEF

/* Mapping of Acc register -> C Vgpr register */
/* computeStoreVgprs */
v_lshrrev_b32 v4, 6, v[vgprSerial]                 // v4 = v[vgprSerial] / 64
v_and_b32 v1, 63, v[vgprSerial]                    // v1 = v[vgprSerial] % 64
v_lshrrev_b32 v1, 3, v1                            // v1 = v1 / 8
                                                   // thread0 * continuous_output (multiplier is 1, do nothing)
v_lshrrev_b32 v5, 1, v1                            // v5 = v1 / 2
v_and_b32 v1, 1, v1                                // v1 = v1 % 2
v_lshlrev_b32 v1, 0x2, v1                          // (tid1%MIBN)*(MIN//MIOVW)
_v_add_u32 v1, v5, v1                              // tid1 = (tid1/MIBN) + (tid1%MIBN)*MIN
v_lshrrev_b32 v5, 0, v4                            // v5 = v4 / 1
v_mul_lo_u32 v5, 0x8, v5                           // wave coordination offset 1
_v_add_lshl_u32 v1, v5, v1, 0                      // coordination 1 = vwb *(wave_id1 + tid1)
v_mul_lo_u32 v2, v1, s[sgprStrideC1J]              //  offset 1
v_mul_lo_u32 v3, v1, s[sgprStrideD1J]              //  offset 1
v_and_b32 v5, 0, v4                                // v5 = v4 % 1
v_and_b32 v0, 7, v[vgprSerial]                     // v0 = v[vgprSerial] % 8
_v_add_lshl_u32 v0, v5, v0, 0                      // coordination 0 = vwa *(wave_id0 + tid0)
s_mul_i32 s31, 128, s[sgprWorkGroup0]              // wgp0 * MT0
_v_add_u32 v0, s31, v0                             // coord 0 = (tid0/MI_m)*4 + waveG0*MIB_m + MT0*SG0
s_mul_i32 s31, 8, s[sgprWorkGroup1]                // wgp1 * MT1
_v_add_u32 v1, s31, v1                             // coord 1 = (tid0%MI_m) + waveG1*MIB_n + MT1*SG1
GW_B0_E0_25:

/* edge=0, allocate 2 sgpr. perBatchTmpS=2 perBatchMaskS=0 perElementMaskS=0 elementsPerBatch=4 */
/* optSingleColVgpr=1 optSharedColVgpr=0 optSGPRUsage=BufferLoad_Mask optSrdIncForRow=1 */

/******************************************/
/* Global Write Batch #0 (d1,d0,vc1,vc0) = */
/*    (0,0,0,0:vw1); (0,1,0,0:vw1); (0,2,0,0:vw1); (0,3,0,0:vw1) */
/******************************************/

/* calc coords, apply mask, and issue loads (if necessary) */
/* (d1,vc1,d0,vc0)=(0,0,0,0) */
/* (d1,vc1,d0,vc0)=(0,0,1,0) */
	;; [unrolled: 1-line block ×4, first 2 shown]
_v_add_lshl_u32 v6, v3, v0, 0x4                    // optSingleColVgpr scaleToBpe: sharedAddrVgpr <- cinRowPtr + coord0, scaled by BPE. BSHERE:coord0=0, coord0Vgpr=0
v_accvgpr_read_b32 v[vgprValuC+8], acc0 // copy acc to vreg[0]
v_accvgpr_read_b32 v[vgprValuC+9], acc1 // copy acc to vreg[1]
v_accvgpr_read_b32 v[vgprValuC+10], acc32 // copy acc to vreg[2]
v_accvgpr_read_b32 v[vgprValuC+11], acc33 // copy acc to vreg[3]
v_accvgpr_read_b32 v[vgprValuC+12], acc2 // copy acc to vreg[4]
v_accvgpr_read_b32 v[vgprValuC+13], acc3 // copy acc to vreg[5]
v_accvgpr_read_b32 v[vgprValuC+14], acc34 // copy acc to vreg[6]
v_accvgpr_read_b32 v[vgprValuC+15], acc35 // copy acc to vreg[7]
v_accvgpr_read_b32 v[vgprValuC+16], acc4 // copy acc to vreg[8]
v_accvgpr_read_b32 v[vgprValuC+17], acc5 // copy acc to vreg[9]
v_accvgpr_read_b32 v[vgprValuC+18], acc36 // copy acc to vreg[10]
v_accvgpr_read_b32 v[vgprValuC+19], acc37 // copy acc to vreg[11]
v_accvgpr_read_b32 v[vgprValuC+20], acc6 // copy acc to vreg[12]
v_accvgpr_read_b32 v[vgprValuC+21], acc7 // copy acc to vreg[13]
v_accvgpr_read_b32 v[vgprValuC+22], acc38 // copy acc to vreg[14]
v_accvgpr_read_b32 v[vgprValuC+23], acc39 // copy acc to vreg[15]
s_nop 1                                            // 2 wait states required before reading vgpr

/* apply mask, calc new C and issue writes */
_buffer_store_b128 v[8:11], v6, s[sgprSrdD:sgprSrdD+3], 0, offen, offset:0 // store D
_buffer_store_b128 v[12:15], v6, s[sgprSrdD:sgprSrdD+3], 0, offen, offset:128 // store D
_buffer_store_b128 v[16:19], v6, s[sgprSrdD:sgprSrdD+3], 0, offen, offset:256 // store D
_buffer_store_b128 v[20:23], v6, s[sgprSrdD:sgprSrdD+3], 0, offen, offset:384 // store D
s_nop 0                                            // 1 wait state required when next inst writes vgprs held by previous dwordx4 store inst
/* optSingleColVgpr=1 optSharedColVgpr=0 optSGPRUsage=BufferLoad_Mask optSrdIncForRow=1 */

/******************************************/
/* Global Write Batch #1 (d1,d0,vc1,vc0) = */
/*    (0,4,0,0:vw1); (0,5,0,0:vw1); (0,6,0,0:vw1); (0,7,0,0:vw1) */
/******************************************/

/* calc coords, apply mask, and issue loads (if necessary) */
/* (d1,vc1,d0,vc0)=(0,0,4,0) */
/* (d1,vc1,d0,vc0)=(0,0,5,0) */
	;; [unrolled: 1-line block ×4, first 2 shown]
v_accvgpr_read_b32 v[vgprValuC+8], acc8 // copy acc to vreg[16]
v_accvgpr_read_b32 v[vgprValuC+9], acc9 // copy acc to vreg[17]
v_accvgpr_read_b32 v[vgprValuC+10], acc40 // copy acc to vreg[18]
v_accvgpr_read_b32 v[vgprValuC+11], acc41 // copy acc to vreg[19]
v_accvgpr_read_b32 v[vgprValuC+12], acc10 // copy acc to vreg[20]
v_accvgpr_read_b32 v[vgprValuC+13], acc11 // copy acc to vreg[21]
v_accvgpr_read_b32 v[vgprValuC+14], acc42 // copy acc to vreg[22]
v_accvgpr_read_b32 v[vgprValuC+15], acc43 // copy acc to vreg[23]
v_accvgpr_read_b32 v[vgprValuC+16], acc12 // copy acc to vreg[24]
v_accvgpr_read_b32 v[vgprValuC+17], acc13 // copy acc to vreg[25]
v_accvgpr_read_b32 v[vgprValuC+18], acc44 // copy acc to vreg[26]
v_accvgpr_read_b32 v[vgprValuC+19], acc45 // copy acc to vreg[27]
v_accvgpr_read_b32 v[vgprValuC+20], acc14 // copy acc to vreg[28]
v_accvgpr_read_b32 v[vgprValuC+21], acc15 // copy acc to vreg[29]
v_accvgpr_read_b32 v[vgprValuC+22], acc46 // copy acc to vreg[30]
v_accvgpr_read_b32 v[vgprValuC+23], acc47 // copy acc to vreg[31]
s_nop 1                                            // 2 wait states required before reading vgpr

/* apply mask, calc new C and issue writes */
_buffer_store_b128 v[8:11], v6, s[sgprSrdD:sgprSrdD+3], 0, offen, offset:512 // store D
_buffer_store_b128 v[12:15], v6, s[sgprSrdD:sgprSrdD+3], 0, offen, offset:640 // store D
_buffer_store_b128 v[16:19], v6, s[sgprSrdD:sgprSrdD+3], 0, offen, offset:768 // store D
_buffer_store_b128 v[20:23], v6, s[sgprSrdD:sgprSrdD+3], 0, offen, offset:896 // store D
s_nop 0                                            // 1 wait state required when next inst writes vgprs held by previous dwordx4 store inst
/* optSingleColVgpr=1 optSharedColVgpr=0 optSGPRUsage=BufferLoad_Mask optSrdIncForRow=1 */

/******************************************/
/* Global Write Batch #2 (d1,d0,vc1,vc0) = */
/*    (0,8,0,0:vw1); (0,9,0,0:vw1); (0,10,0,0:vw1); (0,11,0,0:vw1) */
/******************************************/

/* calc coords, apply mask, and issue loads (if necessary) */
/* (d1,vc1,d0,vc0)=(0,0,8,0) */
/* (d1,vc1,d0,vc0)=(0,0,9,0) */
	;; [unrolled: 1-line block ×4, first 2 shown]
v_accvgpr_read_b32 v[vgprValuC+8], acc16 // copy acc to vreg[32]
v_accvgpr_read_b32 v[vgprValuC+9], acc17 // copy acc to vreg[33]
v_accvgpr_read_b32 v[vgprValuC+10], acc48 // copy acc to vreg[34]
v_accvgpr_read_b32 v[vgprValuC+11], acc49 // copy acc to vreg[35]
v_accvgpr_read_b32 v[vgprValuC+12], acc18 // copy acc to vreg[36]
v_accvgpr_read_b32 v[vgprValuC+13], acc19 // copy acc to vreg[37]
v_accvgpr_read_b32 v[vgprValuC+14], acc50 // copy acc to vreg[38]
v_accvgpr_read_b32 v[vgprValuC+15], acc51 // copy acc to vreg[39]
v_accvgpr_read_b32 v[vgprValuC+16], acc20 // copy acc to vreg[40]
v_accvgpr_read_b32 v[vgprValuC+17], acc21 // copy acc to vreg[41]
v_accvgpr_read_b32 v[vgprValuC+18], acc52 // copy acc to vreg[42]
v_accvgpr_read_b32 v[vgprValuC+19], acc53 // copy acc to vreg[43]
v_accvgpr_read_b32 v[vgprValuC+20], acc22 // copy acc to vreg[44]
v_accvgpr_read_b32 v[vgprValuC+21], acc23 // copy acc to vreg[45]
v_accvgpr_read_b32 v[vgprValuC+22], acc54 // copy acc to vreg[46]
v_accvgpr_read_b32 v[vgprValuC+23], acc55 // copy acc to vreg[47]
s_nop 1                                            // 2 wait states required before reading vgpr

/* apply mask, calc new C and issue writes */
_buffer_store_b128 v[8:11], v6, s[sgprSrdD:sgprSrdD+3], 0, offen, offset:1024 // store D
_buffer_store_b128 v[12:15], v6, s[sgprSrdD:sgprSrdD+3], 0, offen, offset:1152 // store D
	;; [unrolled: 1-line block ×4, first 2 shown]
s_nop 0                                            // 1 wait state required when next inst writes vgprs held by previous dwordx4 store inst
/* optSingleColVgpr=1 optSharedColVgpr=0 optSGPRUsage=BufferLoad_Mask optSrdIncForRow=1 */

/******************************************/
/* Global Write Batch #3 (d1,d0,vc1,vc0) = */
/*    (0,12,0,0:vw1); (0,13,0,0:vw1); (0,14,0,0:vw1); (0,15,0,0:vw1) */
/******************************************/

/* calc coords, apply mask, and issue loads (if necessary) */
/* (d1,vc1,d0,vc0)=(0,0,12,0) */
/* (d1,vc1,d0,vc0)=(0,0,13,0) */
	;; [unrolled: 1-line block ×4, first 2 shown]
v_accvgpr_read_b32 v[vgprValuC+8], acc24 // copy acc to vreg[48]
v_accvgpr_read_b32 v[vgprValuC+9], acc25 // copy acc to vreg[49]
v_accvgpr_read_b32 v[vgprValuC+10], acc56 // copy acc to vreg[50]
v_accvgpr_read_b32 v[vgprValuC+11], acc57 // copy acc to vreg[51]
v_accvgpr_read_b32 v[vgprValuC+12], acc26 // copy acc to vreg[52]
v_accvgpr_read_b32 v[vgprValuC+13], acc27 // copy acc to vreg[53]
v_accvgpr_read_b32 v[vgprValuC+14], acc58 // copy acc to vreg[54]
v_accvgpr_read_b32 v[vgprValuC+15], acc59 // copy acc to vreg[55]
v_accvgpr_read_b32 v[vgprValuC+16], acc28 // copy acc to vreg[56]
v_accvgpr_read_b32 v[vgprValuC+17], acc29 // copy acc to vreg[57]
v_accvgpr_read_b32 v[vgprValuC+18], acc60 // copy acc to vreg[58]
v_accvgpr_read_b32 v[vgprValuC+19], acc61 // copy acc to vreg[59]
v_accvgpr_read_b32 v[vgprValuC+20], acc30 // copy acc to vreg[60]
v_accvgpr_read_b32 v[vgprValuC+21], acc31 // copy acc to vreg[61]
v_accvgpr_read_b32 v[vgprValuC+22], acc62 // copy acc to vreg[62]
v_accvgpr_read_b32 v[vgprValuC+23], acc63 // copy acc to vreg[63]
s_nop 1                                            // 2 wait states required before reading vgpr

/* apply mask, calc new C and issue writes */
_buffer_store_b128 v[8:11], v6, s[sgprSrdD:sgprSrdD+3], 0, offen, offset:1536 // store D
_buffer_store_b128 v[12:15], v6, s[sgprSrdD:sgprSrdD+3], 0, offen, offset:1664 // store D
	;; [unrolled: 1-line block ×4, first 2 shown]
s_nop 0                                            // 1 wait state required when next inst writes vgprs held by previous dwordx4 store inst
s_branch label_GW_End_27                           // jump to end
label_GW_End_27:

s_endpgm                                           // Kernel End
OptNLL_End_17:


/******************************************/
/* Ord. NoLoadLoop - Begin                                      */
/******************************************/


	;; [unrolled: 1-line block ×3, first 2 shown]
/* Tail Loop in NoLoadLoop */
//numIterL = (((sizeL % LOCAL_DEPTHU) + LOCAL_SPLITU - 1) / LOCAL_SPLITU)
s_and_b32 s[sgprLoopCounterL], 7, s[sgprSizesSum+0] // s[sgprLoopCounterL] = s[sgprSizesSum+0] % 8
s_cmp_eq_u32 s[sgprLoopCounterL], 0x0              // numIterL == 0
s_cmov_b32 s[sgprLoopCounterL], 0x8                // Convert 0 to DepthU in tail loop NLL case



/* iter 0 (last unrolled loop) */

/*  grEndMfmaIndex:0, lwStartMfmaIndex:89, lwEndMfmaIndex:89  */
/*  numMfmaForLR:36, barrierMfmaIndex:91, LocalWritePerMfma:0.320 */
/*  mfmaIndex:0  */
s_waitcnt lgkmcnt(0)                               // lgkmcnt=0 vmcnt=-1wait for prior local read local write old=0, new=0 newLW=0 newLR=0

/* tail loop mfma iter 0: numReadsIterCoalescedA=1, numReadsIterCoalescedB=1 */
v_and_b32 v211, 63, v[vgprSerial]                  // v211 = v[vgprSerial] % 64
v_lshrrev_b32 v211, 4, v211                        // v211 = v211 / 16
                                                   // v211 = v211 * 1 (multiplier is 1, do nothing)
v_cmp_ge_i32 s[32:33], v211, s[sgprLoopCounterL]   // check K index >= Size L
v_cndmask_b32 v[vgprValuB_X0_I0+0+0+0+0], v[vgprValuB_X0_I0+0+0+0+0], 0x0, s[32:33] // set 0 if K_idx >= sizeL
v_cndmask_b32 v[vgprValuB_X0_I0+0+0+0+1], v[vgprValuB_X0_I0+0+0+0+1], 0x0, s[32:33] // set 0 if K_idx >= sizeL
v_cndmask_b32 v[vgprValuB_X0_I0+0+0+0+2], v[vgprValuB_X0_I0+0+0+0+2], 0x0, s[32:33] // set 0 if K_idx >= sizeL
v_cndmask_b32 v[vgprValuB_X0_I0+0+0+0+3], v[vgprValuB_X0_I0+0+0+0+3], 0x0, s[32:33] // set 0 if K_idx >= sizeL
s_nop 1
v_add_f64 v[212:213], -v[vgprValuA_X0_I0+0+0+0+2:vgprValuA_X0_I0+0+0+0+2+1], 0 // Ai=-Ai
v_mfma_f64_4x4x4f64 a[0+0:1+0], v[vgprValuB_X0_I0+0+0+0:vgprValuB_X0_I0+0+0+0+1], v[vgprValuA_X0_I0+0+0+0:vgprValuA_X0_I0+0+0+0+1], a[0:1]
 // Cr += Ar*Br
/*  mfmaIndex:1  */
_ds_load_b128 v[vgprValuA_X1_I0+0:vgprValuA_X1_I0+0+3], v[vgprLocalReadAddrA] offset:8192 // L -> Reg lro=512 swapByteOffset=0 ti=8 vIdx=0 rIdx=0 oIdx=0 buffer=1 iui=0
v_mfma_f64_4x4x4f64 a[32+0:33+0], v[vgprValuB_X0_I0+0+0+0:vgprValuB_X0_I0+0+0+0+1], v[vgprValuA_X0_I0+0+0+0+2:vgprValuA_X0_I0+0+0+0+2+1], a[32:33]
 // Ci += Ai*Br
/*  mfmaIndex:2  */
_ds_load_b128 v[vgprValuB_X1_I0+0:vgprValuB_X1_I0+0+3], v[vgprLocalReadAddrB] offset:64 // L -> Reg lro=4 swapByteOffset=0 ti=8 vIdx=0 rIdx=0 oIdx=0 buffer=1 iui=0
v_mfma_f64_4x4x4f64 a[0+0:1+0], v[vgprValuB_X0_I0+0+0+0+2:vgprValuB_X0_I0+0+0+0+2+1], v[212:213], a[0:1]
 // Cr += -Ai*Bi
/*  mfmaIndex:3  */
_ds_load_b128 v[vgprValuA_X1_I0+4:vgprValuA_X1_I0+4+3], v[vgprLocalReadAddrA] offset:8320 // L -> Reg lro=512 swapByteOffset=0 ti=8 vIdx=1 rIdx=0 oIdx=0 buffer=1 iui=0
v_mfma_f64_4x4x4f64 a[32+0:33+0], v[vgprValuB_X0_I0+0+0+0+2:vgprValuB_X0_I0+0+0+0+2+1], v[vgprValuA_X0_I0+0+0+0:vgprValuA_X0_I0+0+0+0+1], a[32:33]
 // Ci += Ar*Bi
/*  mfmaIndex:4  */
_ds_load_b128 v[vgprValuA_X1_I0+8:vgprValuA_X1_I0+8+3], v[vgprLocalReadAddrA] offset:8448 // L -> Reg lro=512 swapByteOffset=0 ti=8 vIdx=2 rIdx=0 oIdx=0 buffer=1 iui=0
v_add_f64 v[212:213], -v[vgprValuA_X0_I0+4+0+0+2:vgprValuA_X0_I0+4+0+0+2+1], 0 // Ai=-Ai
v_mfma_f64_4x4x4f64 a[2+0:3+0], v[vgprValuB_X0_I0+0+0+0:vgprValuB_X0_I0+0+0+0+1], v[vgprValuA_X0_I0+4+0+0:vgprValuA_X0_I0+4+0+0+1], a[2:3]
 // Cr += Ar*Br
/*  mfmaIndex:5  */
_ds_load_b128 v[vgprValuA_X1_I0+12:vgprValuA_X1_I0+12+3], v[vgprLocalReadAddrA] offset:8576 // L -> Reg lro=512 swapByteOffset=0 ti=8 vIdx=3 rIdx=0 oIdx=0 buffer=1 iui=0
v_mfma_f64_4x4x4f64 a[34+0:35+0], v[vgprValuB_X0_I0+0+0+0:vgprValuB_X0_I0+0+0+0+1], v[vgprValuA_X0_I0+4+0+0+2:vgprValuA_X0_I0+4+0+0+2+1], a[34:35]
 // Ci += Ai*Br
/*  mfmaIndex:6  */
_ds_load_b128 v[vgprValuA_X1_I0+16:vgprValuA_X1_I0+16+3], v[vgprLocalReadAddrA] offset:8704 // L -> Reg lro=512 swapByteOffset=0 ti=8 vIdx=4 rIdx=0 oIdx=0 buffer=1 iui=0
v_mfma_f64_4x4x4f64 a[2+0:3+0], v[vgprValuB_X0_I0+0+0+0+2:vgprValuB_X0_I0+0+0+0+2+1], v[212:213], a[2:3]
 // Cr += -Ai*Bi
/*  mfmaIndex:7  */
_ds_load_b128 v[vgprValuA_X1_I0+20:vgprValuA_X1_I0+20+3], v[vgprLocalReadAddrA] offset:8832 // L -> Reg lro=512 swapByteOffset=0 ti=8 vIdx=5 rIdx=0 oIdx=0 buffer=1 iui=0
v_mfma_f64_4x4x4f64 a[34+0:35+0], v[vgprValuB_X0_I0+0+0+0+2:vgprValuB_X0_I0+0+0+0+2+1], v[vgprValuA_X0_I0+4+0+0:vgprValuA_X0_I0+4+0+0+1], a[34:35]
 // Ci += Ar*Bi
/*  mfmaIndex:8  */
_ds_load_b128 v[vgprValuA_X1_I0+24:vgprValuA_X1_I0+24+3], v[vgprLocalReadAddrA] offset:8960 // L -> Reg lro=512 swapByteOffset=0 ti=8 vIdx=6 rIdx=0 oIdx=0 buffer=1 iui=0
v_add_f64 v[212:213], -v[vgprValuA_X0_I0+8+0+0+2:vgprValuA_X0_I0+8+0+0+2+1], 0 // Ai=-Ai
v_mfma_f64_4x4x4f64 a[4+0:5+0], v[vgprValuB_X0_I0+0+0+0:vgprValuB_X0_I0+0+0+0+1], v[vgprValuA_X0_I0+8+0+0:vgprValuA_X0_I0+8+0+0+1], a[4:5]
 // Cr += Ar*Br
/*  mfmaIndex:9  */
_ds_load_b128 v[vgprValuA_X1_I0+28:vgprValuA_X1_I0+28+3], v[vgprLocalReadAddrA] offset:9088 // L -> Reg lro=512 swapByteOffset=0 ti=8 vIdx=7 rIdx=0 oIdx=0 buffer=1 iui=0
v_mfma_f64_4x4x4f64 a[36+0:37+0], v[vgprValuB_X0_I0+0+0+0:vgprValuB_X0_I0+0+0+0+1], v[vgprValuA_X0_I0+8+0+0+2:vgprValuA_X0_I0+8+0+0+2+1], a[36:37]
 // Ci += Ai*Br
/*  mfmaIndex:10  */
_ds_load_b128 v[vgprValuA_X1_I0+32:vgprValuA_X1_I0+32+3], v[vgprLocalReadAddrA] offset:9216 // L -> Reg lro=512 swapByteOffset=0 ti=8 vIdx=8 rIdx=0 oIdx=0 buffer=1 iui=0
v_mfma_f64_4x4x4f64 a[4+0:5+0], v[vgprValuB_X0_I0+0+0+0+2:vgprValuB_X0_I0+0+0+0+2+1], v[212:213], a[4:5]
 // Cr += -Ai*Bi
/*  mfmaIndex:11  */
_ds_load_b128 v[vgprValuA_X1_I0+36:vgprValuA_X1_I0+36+3], v[vgprLocalReadAddrA] offset:9344 // L -> Reg lro=512 swapByteOffset=0 ti=8 vIdx=9 rIdx=0 oIdx=0 buffer=1 iui=0
v_mfma_f64_4x4x4f64 a[36+0:37+0], v[vgprValuB_X0_I0+0+0+0+2:vgprValuB_X0_I0+0+0+0+2+1], v[vgprValuA_X0_I0+8+0+0:vgprValuA_X0_I0+8+0+0+1], a[36:37]
 // Ci += Ar*Bi
/*  mfmaIndex:12  */
_ds_load_b128 v[vgprValuA_X1_I0+40:vgprValuA_X1_I0+40+3], v[vgprLocalReadAddrA] offset:9472 // L -> Reg lro=512 swapByteOffset=0 ti=8 vIdx=10 rIdx=0 oIdx=0 buffer=1 iui=0
v_add_f64 v[212:213], -v[vgprValuA_X0_I0+12+0+0+2:vgprValuA_X0_I0+12+0+0+2+1], 0 // Ai=-Ai
v_mfma_f64_4x4x4f64 a[6+0:7+0], v[vgprValuB_X0_I0+0+0+0:vgprValuB_X0_I0+0+0+0+1], v[vgprValuA_X0_I0+12+0+0:vgprValuA_X0_I0+12+0+0+1], a[6:7]
 // Cr += Ar*Br
/*  mfmaIndex:13  */
_ds_load_b128 v[vgprValuA_X1_I0+44:vgprValuA_X1_I0+44+3], v[vgprLocalReadAddrA] offset:9600 // L -> Reg lro=512 swapByteOffset=0 ti=8 vIdx=11 rIdx=0 oIdx=0 buffer=1 iui=0
v_mfma_f64_4x4x4f64 a[38+0:39+0], v[vgprValuB_X0_I0+0+0+0:vgprValuB_X0_I0+0+0+0+1], v[vgprValuA_X0_I0+12+0+0+2:vgprValuA_X0_I0+12+0+0+2+1], a[38:39]
 // Ci += Ai*Br
/*  mfmaIndex:14  */
_ds_load_b128 v[vgprValuA_X1_I0+48:vgprValuA_X1_I0+48+3], v[vgprLocalReadAddrA] offset:9728 // L -> Reg lro=512 swapByteOffset=0 ti=8 vIdx=12 rIdx=0 oIdx=0 buffer=1 iui=0
v_mfma_f64_4x4x4f64 a[6+0:7+0], v[vgprValuB_X0_I0+0+0+0+2:vgprValuB_X0_I0+0+0+0+2+1], v[212:213], a[6:7]
 // Cr += -Ai*Bi
/*  mfmaIndex:15  */
_ds_load_b128 v[vgprValuA_X1_I0+52:vgprValuA_X1_I0+52+3], v[vgprLocalReadAddrA] offset:9856 // L -> Reg lro=512 swapByteOffset=0 ti=8 vIdx=13 rIdx=0 oIdx=0 buffer=1 iui=0
v_mfma_f64_4x4x4f64 a[38+0:39+0], v[vgprValuB_X0_I0+0+0+0+2:vgprValuB_X0_I0+0+0+0+2+1], v[vgprValuA_X0_I0+12+0+0:vgprValuA_X0_I0+12+0+0+1], a[38:39]
 // Ci += Ar*Bi
/*  mfmaIndex:16  */
_ds_load_b128 v[vgprValuA_X1_I0+56:vgprValuA_X1_I0+56+3], v[vgprLocalReadAddrA] offset:9984 // L -> Reg lro=512 swapByteOffset=0 ti=8 vIdx=14 rIdx=0 oIdx=0 buffer=1 iui=0
v_add_f64 v[212:213], -v[vgprValuA_X0_I0+16+0+0+2:vgprValuA_X0_I0+16+0+0+2+1], 0 // Ai=-Ai
v_mfma_f64_4x4x4f64 a[8+0:9+0], v[vgprValuB_X0_I0+0+0+0:vgprValuB_X0_I0+0+0+0+1], v[vgprValuA_X0_I0+16+0+0:vgprValuA_X0_I0+16+0+0+1], a[8:9]
 // Cr += Ar*Br
/*  mfmaIndex:17  */
_ds_load_b128 v[vgprValuA_X1_I0+60:vgprValuA_X1_I0+60+3], v[vgprLocalReadAddrA] offset:10112 // L -> Reg lro=512 swapByteOffset=0 ti=8 vIdx=15 rIdx=0 oIdx=0 buffer=1 iui=0
v_mfma_f64_4x4x4f64 a[40+0:41+0], v[vgprValuB_X0_I0+0+0+0:vgprValuB_X0_I0+0+0+0+1], v[vgprValuA_X0_I0+16+0+0+2:vgprValuA_X0_I0+16+0+0+2+1], a[40:41]
 // Ci += Ai*Br
/*  mfmaIndex:18  */
/* localReadsVacancy: latencyLeft 1 */
v_mfma_f64_4x4x4f64 a[8+0:9+0], v[vgprValuB_X0_I0+0+0+0+2:vgprValuB_X0_I0+0+0+0+2+1], v[212:213], a[8:9]
 // Cr += -Ai*Bi
/*  mfmaIndex:19  */
/* localReadsVacancy: latencyLeft 1 */
v_mfma_f64_4x4x4f64 a[40+0:41+0], v[vgprValuB_X0_I0+0+0+0+2:vgprValuB_X0_I0+0+0+0+2+1], v[vgprValuA_X0_I0+16+0+0:vgprValuA_X0_I0+16+0+0+1], a[40:41]
 // Ci += Ar*Bi
/*  mfmaIndex:20  */
/* localReadsVacancy: latencyLeft 1 */
v_add_f64 v[212:213], -v[vgprValuA_X0_I0+20+0+0+2:vgprValuA_X0_I0+20+0+0+2+1], 0 // Ai=-Ai
v_mfma_f64_4x4x4f64 a[10+0:11+0], v[vgprValuB_X0_I0+0+0+0:vgprValuB_X0_I0+0+0+0+1], v[vgprValuA_X0_I0+20+0+0:vgprValuA_X0_I0+20+0+0+1], a[10:11]
 // Cr += Ar*Br
/*  mfmaIndex:21  */
/* localReadsVacancy: latencyLeft 1 */
v_mfma_f64_4x4x4f64 a[42+0:43+0], v[vgprValuB_X0_I0+0+0+0:vgprValuB_X0_I0+0+0+0+1], v[vgprValuA_X0_I0+20+0+0+2:vgprValuA_X0_I0+20+0+0+2+1], a[42:43]
 // Ci += Ai*Br
/*  mfmaIndex:22  */
/* localReadsVacancy: latencyLeft 1 */
v_mfma_f64_4x4x4f64 a[10+0:11+0], v[vgprValuB_X0_I0+0+0+0+2:vgprValuB_X0_I0+0+0+0+2+1], v[212:213], a[10:11]
 // Cr += -Ai*Bi
/*  mfmaIndex:23  */
/* localReadsVacancy: latencyLeft 1 */
v_mfma_f64_4x4x4f64 a[42+0:43+0], v[vgprValuB_X0_I0+0+0+0+2:vgprValuB_X0_I0+0+0+0+2+1], v[vgprValuA_X0_I0+20+0+0:vgprValuA_X0_I0+20+0+0+1], a[42:43]
 // Ci += Ar*Bi
/*  mfmaIndex:24  */
/* localReadsVacancy: latencyLeft 1 */
v_add_f64 v[212:213], -v[vgprValuA_X0_I0+24+0+0+2:vgprValuA_X0_I0+24+0+0+2+1], 0 // Ai=-Ai
v_mfma_f64_4x4x4f64 a[12+0:13+0], v[vgprValuB_X0_I0+0+0+0:vgprValuB_X0_I0+0+0+0+1], v[vgprValuA_X0_I0+24+0+0:vgprValuA_X0_I0+24+0+0+1], a[12:13]
 // Cr += Ar*Br
/*  mfmaIndex:25  */
/* localReadsVacancy: latencyLeft 1 */
	;; [unrolled: 17-line block ×11, first 2 shown]
v_mfma_f64_4x4x4f64 a[62+0:63+0], v[vgprValuB_X0_I0+0+0+0:vgprValuB_X0_I0+0+0+0+1], v[vgprValuA_X0_I0+60+0+0+2:vgprValuA_X0_I0+60+0+0+2+1], a[62:63]
 // Ci += Ai*Br
/*  mfmaIndex:62  */
/* localReadsVacancy: latencyLeft 1 */
v_mfma_f64_4x4x4f64 a[30+0:31+0], v[vgprValuB_X0_I0+0+0+0+2:vgprValuB_X0_I0+0+0+0+2+1], v[212:213], a[30:31]
 // Cr += -Ai*Bi
/*  mfmaIndex:63  */
/* localReadsVacancy: latencyLeft 1 */
v_mfma_f64_4x4x4f64 a[62+0:63+0], v[vgprValuB_X0_I0+0+0+0+2:vgprValuB_X0_I0+0+0+0+2+1], v[vgprValuA_X0_I0+60+0+0:vgprValuA_X0_I0+60+0+0+1], a[62:63]
 // Ci += Ar*Bi
/* numPrefetchIter=0 */
/* dataAtIterA=-1 numReadsIterA=1 skipReadsIterA=1 readsPerIterA=16 */
/* dataAtIterB=-1 numReadsIterB=1 skipReadsIterB=1 readsPerIterB=1 */


/* closeLoop loopL finalLoop=0 tailLoop=1 */
s_sub_i32 s[sgprLoopCounterL], s[sgprLoopCounterL], 0x4 // dec counterL (tailLoop)
s_add_u32 s[sgprOrigLoopCounter], s[sgprOrigLoopCounter], 0x4 // inc counterL
s_cmp_le_i32 s[sgprLoopCounterL], 0x0              // counterL<=0
s_cbranch_scc1 TailLoopEndL_7                      // exit LoopL


/* iter 1 (last unrolled loop) */

/*  grEndMfmaIndex:0, lwStartMfmaIndex:89, lwEndMfmaIndex:89  */
/*  numMfmaForLR:36, barrierMfmaIndex:91, LocalWritePerMfma:0.320 */
/*  mfmaIndex:64  */
s_waitcnt lgkmcnt(0)                               // lgkmcnt=0 vmcnt=-1wait for prior local read local write old=0, new=0 newLW=0 newLR=0

/* tail loop mfma iter 1: numReadsIterCoalescedA=1, numReadsIterCoalescedB=1 */
v_and_b32 v211, 63, v[vgprSerial]                  // v211 = v[vgprSerial] % 64
v_lshrrev_b32 v211, 4, v211                        // v211 = v211 / 16
                                                   // v211 = v211 * 1 (multiplier is 1, do nothing)
v_cmp_ge_i32 s[32:33], v211, s[sgprLoopCounterL]   // check K index >= Size L
v_cndmask_b32 v[vgprValuB_X1_I0+0+0+0+0], v[vgprValuB_X1_I0+0+0+0+0], 0x0, s[32:33] // set 0 if K_idx >= sizeL
v_cndmask_b32 v[vgprValuB_X1_I0+0+0+0+1], v[vgprValuB_X1_I0+0+0+0+1], 0x0, s[32:33] // set 0 if K_idx >= sizeL
	;; [unrolled: 1-line block ×4, first 2 shown]
s_nop 1
v_add_f64 v[212:213], -v[vgprValuA_X1_I0+0+0+0+2:vgprValuA_X1_I0+0+0+0+2+1], 0 // Ai=-Ai
v_mfma_f64_4x4x4f64 a[0+0:1+0], v[vgprValuB_X1_I0+0+0+0:vgprValuB_X1_I0+0+0+0+1], v[vgprValuA_X1_I0+0+0+0:vgprValuA_X1_I0+0+0+0+1], a[0:1]
 // Cr += Ar*Br
/*  mfmaIndex:65  */
v_mfma_f64_4x4x4f64 a[32+0:33+0], v[vgprValuB_X1_I0+0+0+0:vgprValuB_X1_I0+0+0+0+1], v[vgprValuA_X1_I0+0+0+0+2:vgprValuA_X1_I0+0+0+0+2+1], a[32:33]
 // Ci += Ai*Br
/*  mfmaIndex:66  */
v_mfma_f64_4x4x4f64 a[0+0:1+0], v[vgprValuB_X1_I0+0+0+0+2:vgprValuB_X1_I0+0+0+0+2+1], v[212:213], a[0:1]
 // Cr += -Ai*Bi
/*  mfmaIndex:67  */
v_mfma_f64_4x4x4f64 a[32+0:33+0], v[vgprValuB_X1_I0+0+0+0+2:vgprValuB_X1_I0+0+0+0+2+1], v[vgprValuA_X1_I0+0+0+0:vgprValuA_X1_I0+0+0+0+1], a[32:33]
 // Ci += Ar*Bi
/*  mfmaIndex:68  */
v_add_f64 v[212:213], -v[vgprValuA_X1_I0+4+0+0+2:vgprValuA_X1_I0+4+0+0+2+1], 0 // Ai=-Ai
v_mfma_f64_4x4x4f64 a[2+0:3+0], v[vgprValuB_X1_I0+0+0+0:vgprValuB_X1_I0+0+0+0+1], v[vgprValuA_X1_I0+4+0+0:vgprValuA_X1_I0+4+0+0+1], a[2:3]
 // Cr += Ar*Br
/*  mfmaIndex:69  */
v_mfma_f64_4x4x4f64 a[34+0:35+0], v[vgprValuB_X1_I0+0+0+0:vgprValuB_X1_I0+0+0+0+1], v[vgprValuA_X1_I0+4+0+0+2:vgprValuA_X1_I0+4+0+0+2+1], a[34:35]
 // Ci += Ai*Br
/*  mfmaIndex:70  */
v_mfma_f64_4x4x4f64 a[2+0:3+0], v[vgprValuB_X1_I0+0+0+0+2:vgprValuB_X1_I0+0+0+0+2+1], v[212:213], a[2:3]
 // Cr += -Ai*Bi
/*  mfmaIndex:71  */
v_mfma_f64_4x4x4f64 a[34+0:35+0], v[vgprValuB_X1_I0+0+0+0+2:vgprValuB_X1_I0+0+0+0+2+1], v[vgprValuA_X1_I0+4+0+0:vgprValuA_X1_I0+4+0+0+1], a[34:35]
 // Ci += Ar*Bi
/*  mfmaIndex:72  */
	;; [unrolled: 13-line block ×6, first 2 shown]
/* 1 LDS buffer: read-sync-write */
s_waitcnt lgkmcnt(0)                               // 
s_barrier                                          // 
v_add_f64 v[212:213], -v[vgprValuA_X1_I0+24+0+0+2:vgprValuA_X1_I0+24+0+0+2+1], 0 // Ai=-Ai
v_mfma_f64_4x4x4f64 a[12+0:13+0], v[vgprValuB_X1_I0+0+0+0:vgprValuB_X1_I0+0+0+0+1], v[vgprValuA_X1_I0+24+0+0:vgprValuA_X1_I0+24+0+0+1], a[12:13]
 // Cr += Ar*Br
/*  mfmaIndex:89  */
v_mfma_f64_4x4x4f64 a[44+0:45+0], v[vgprValuB_X1_I0+0+0+0:vgprValuB_X1_I0+0+0+0+1], v[vgprValuA_X1_I0+24+0+0+2:vgprValuA_X1_I0+24+0+0+2+1], a[44:45]
 // Ci += Ai*Br
/*  mfmaIndex:90  */
v_mfma_f64_4x4x4f64 a[12+0:13+0], v[vgprValuB_X1_I0+0+0+0+2:vgprValuB_X1_I0+0+0+0+2+1], v[212:213], a[12:13]
 // Cr += -Ai*Bi
/*  mfmaIndex:91  */
v_mfma_f64_4x4x4f64 a[44+0:45+0], v[vgprValuB_X1_I0+0+0+0+2:vgprValuB_X1_I0+0+0+0+2+1], v[vgprValuA_X1_I0+24+0+0:vgprValuA_X1_I0+24+0+0+1], a[44:45]
 // Ci += Ar*Bi
/*  mfmaIndex:92  */
v_add_f64 v[212:213], -v[vgprValuA_X1_I0+28+0+0+2:vgprValuA_X1_I0+28+0+0+2+1], 0 // Ai=-Ai
v_mfma_f64_4x4x4f64 a[14+0:15+0], v[vgprValuB_X1_I0+0+0+0:vgprValuB_X1_I0+0+0+0+1], v[vgprValuA_X1_I0+28+0+0:vgprValuA_X1_I0+28+0+0+1], a[14:15]
 // Cr += Ar*Br
/*  mfmaIndex:93  */
v_mfma_f64_4x4x4f64 a[46+0:47+0], v[vgprValuB_X1_I0+0+0+0:vgprValuB_X1_I0+0+0+0+1], v[vgprValuA_X1_I0+28+0+0+2:vgprValuA_X1_I0+28+0+0+2+1], a[46:47]
 // Ci += Ai*Br
/*  mfmaIndex:94  */
v_mfma_f64_4x4x4f64 a[14+0:15+0], v[vgprValuB_X1_I0+0+0+0+2:vgprValuB_X1_I0+0+0+0+2+1], v[212:213], a[14:15]
 // Cr += -Ai*Bi
/*  mfmaIndex:95  */
v_mfma_f64_4x4x4f64 a[46+0:47+0], v[vgprValuB_X1_I0+0+0+0+2:vgprValuB_X1_I0+0+0+0+2+1], v[vgprValuA_X1_I0+28+0+0:vgprValuA_X1_I0+28+0+0+1], a[46:47]
 // Ci += Ar*Bi
/*  mfmaIndex:96  */
	;; [unrolled: 13-line block ×9, first 2 shown]
v_add_f64 v[212:213], -v[vgprValuA_X1_I0+60+0+0+2:vgprValuA_X1_I0+60+0+0+2+1], 0 // Ai=-Ai
v_mfma_f64_4x4x4f64 a[30+0:31+0], v[vgprValuB_X1_I0+0+0+0:vgprValuB_X1_I0+0+0+0+1], v[vgprValuA_X1_I0+60+0+0:vgprValuA_X1_I0+60+0+0+1], a[30:31]
 // Cr += Ar*Br
/*  mfmaIndex:125  */
v_mfma_f64_4x4x4f64 a[62+0:63+0], v[vgprValuB_X1_I0+0+0+0:vgprValuB_X1_I0+0+0+0+1], v[vgprValuA_X1_I0+60+0+0+2:vgprValuA_X1_I0+60+0+0+2+1], a[62:63]
 // Ci += Ai*Br
/*  mfmaIndex:126  */
v_mfma_f64_4x4x4f64 a[30+0:31+0], v[vgprValuB_X1_I0+0+0+0+2:vgprValuB_X1_I0+0+0+0+2+1], v[212:213], a[30:31]
 // Cr += -Ai*Bi
/*  mfmaIndex:127  */
v_mfma_f64_4x4x4f64 a[62+0:63+0], v[vgprValuB_X1_I0+0+0+0+2:vgprValuB_X1_I0+0+0+0+2+1], v[vgprValuA_X1_I0+60+0+0:vgprValuA_X1_I0+60+0+0+1], a[62:63]
 // Ci += Ar*Bi
/* numPrefetchIter=0 */
/* dataAtIterA=0 numReadsIterA=1 skipReadsIterA=0 readsPerIterA=16 */
/* dataAtIterB=0 numReadsIterB=1 skipReadsIterB=0 readsPerIterB=1 */

TailLoopEndL_7:

s_waitcnt lgkmcnt(0)                               // lgkmcnt=0 vmcnt=-113wait for remaining local read for tail loop in NLL

PrefetchGlobalLastIterEnd_5:

Summation_End_34:
/* endSummation: add vgpr [0...208) to pool */
.set NumFullBlocks, UNDEF
.set WgmRemainder1, UNDEF
.set MagicNumberWgmRemainder1, UNDEF
.set ScalarGlobalReadOffsetA, UNDEF

/* Mapping of Acc register -> C Vgpr register */


	;; [unrolled: 1-line block ×3, first 2 shown]
/* not-LocalSplitU: global write indices */

/* computeStoreVgprs */
v_lshrrev_b32 v4, 6, v[vgprSerial]                 // v4 = v[vgprSerial] / 64
v_and_b32 v1, 63, v[vgprSerial]                    // v1 = v[vgprSerial] % 64
v_lshrrev_b32 v1, 3, v1                            // v1 = v1 / 8
                                                   // thread0 * continuous_output (multiplier is 1, do nothing)
v_lshrrev_b32 v5, 1, v1                            // v5 = v1 / 2
v_and_b32 v1, 1, v1                                // v1 = v1 % 2
v_lshlrev_b32 v1, 0x2, v1                          // (tid1%MIBN)*(MIN//MIOVW)
_v_add_u32 v1, v5, v1                              // tid1 = (tid1/MIBN) + (tid1%MIBN)*MIN
v_lshrrev_b32 v5, 0, v4                            // v5 = v4 / 1
v_mul_lo_u32 v5, 0x8, v5                           // wave coordination offset 1
_v_add_lshl_u32 v1, v5, v1, 0                      // coordination 1 = vwb *(wave_id1 + tid1)
v_mul_lo_u32 v2, v1, s[sgprStrideC1J]              //  offset 1
v_mul_lo_u32 v3, v1, s[sgprStrideD1J]              //  offset 1
v_and_b32 v5, 0, v4                                // v5 = v4 % 1
v_and_b32 v0, 7, v[vgprSerial]                     // v0 = v[vgprSerial] % 8
_v_add_lshl_u32 v0, v5, v0, 0                      // coordination 0 = vwa *(wave_id0 + tid0)
s_mul_i32 s31, 128, s[sgprWorkGroup0]              // wgp0 * MT0
_v_add_u32 v0, s31, v0                             // coord 0 = (tid0/MI_m)*4 + waveG0*MIB_m + MT0*SG0
s_mul_i32 s31, 8, s[sgprWorkGroup1]                // wgp1 * MT1
_v_add_u32 v1, s31, v1                             // coord 1 = (tid0%MI_m) + waveG1*MIB_n + MT1*SG1


/* not-LocalSplitU: global write */

s_mov_b32 s31, s[sgprBeta+0]                       // tmp = Beta[0]
s_or_b32 s31, s[sgprBeta+1], s31                   // tmp |= Beta[1] 
s_or_b32 s31, s[sgprBeta+2], s31                   // tmp |= Beta[2] 
	;; [unrolled: 1-line block ×3, first 2 shown]
s_cmpk_eq_u32 s31, 0x0                             // Beta == 0
s_cbranch_scc0 GW_Beta_49                          // Branch if Beta is not zero

s_and_b32 s32, 127, s[sgprSizeI]                   // s32 = s[sgprSizeI] % 128
s_add_u32 s33, -0x1, s[sgprNumWorkGroups0]         // 
s_cmp_ge_u32 s[sgprWorkGroup0], s33                // wg0 >= nwg0-1 ?
s_cselect_b32 s32, s32, 0                          // set rMT0
s_cmpk_gt_u32 s32, 0x0                             // rMT0 > 0
s_cbranch_scc1 GW_B0_E1_40                         // jump if edges required
s_and_b32 s32, 7, s[sgprSizeJ]                     // s32 = s[sgprSizeJ] % 8
s_add_u32 s33, -0x1, s[sgprNumWorkGroups1]         // 
s_cmp_ge_u32 s[sgprWorkGroup1], s33                // wg1 >= nwg1-1
s_cselect_b32 s32, s32, 0                          // set rMT1
s_cmpk_gt_u32 s32, 0x0                             // rMT1 > 0
s_cbranch_scc1 GW_B0_E1_40                         // jump if edges required
GW_B0_E0_37:

/* edge=0, allocate 2 sgpr. perBatchTmpS=2 perBatchMaskS=0 perElementMaskS=0 elementsPerBatch=4 */
/* optSingleColVgpr=1 optSharedColVgpr=0 optSGPRUsage=BufferLoad_Mask optSrdIncForRow=1 */

/******************************************/
/* Global Write Alpha Batch #0 (d1,d0,vc1,vc0) = */
/*    (0,0,0,0:vw1); (0,1,0,0:vw1); (0,2,0,0:vw1); (0,3,0,0:vw1) */
/******************************************/

/* calc coords, apply mask, and issue loads (if necessary) */
/* (d1,vc1,d0,vc0)=(0,0,0,0) */
/* (d1,vc1,d0,vc0)=(0,0,1,0) */
	;; [unrolled: 1-line block ×4, first 2 shown]
_v_add_lshl_u32 v6, v3, v0, 0x4                    // optSingleColVgpr scaleToBpe: sharedAddrVgpr <- cinRowPtr + coord0, scaled by BPE. BSHERE:coord0=0, coord0Vgpr=0
v_accvgpr_read_b32 v[vgprValuC+8], acc0 // copy acc to vreg[0]
v_accvgpr_read_b32 v[vgprValuC+9], acc1 // copy acc to vreg[1]
v_accvgpr_read_b32 v[vgprValuC+10], acc32 // copy acc to vreg[2]
v_accvgpr_read_b32 v[vgprValuC+11], acc33 // copy acc to vreg[3]
v_accvgpr_read_b32 v[vgprValuC+12], acc2 // copy acc to vreg[4]
v_accvgpr_read_b32 v[vgprValuC+13], acc3 // copy acc to vreg[5]
v_accvgpr_read_b32 v[vgprValuC+14], acc34 // copy acc to vreg[6]
v_accvgpr_read_b32 v[vgprValuC+15], acc35 // copy acc to vreg[7]
v_accvgpr_read_b32 v[vgprValuC+16], acc4 // copy acc to vreg[8]
v_accvgpr_read_b32 v[vgprValuC+17], acc5 // copy acc to vreg[9]
v_accvgpr_read_b32 v[vgprValuC+18], acc36 // copy acc to vreg[10]
v_accvgpr_read_b32 v[vgprValuC+19], acc37 // copy acc to vreg[11]
v_accvgpr_read_b32 v[vgprValuC+20], acc6 // copy acc to vreg[12]
v_accvgpr_read_b32 v[vgprValuC+21], acc7 // copy acc to vreg[13]
v_accvgpr_read_b32 v[vgprValuC+22], acc38 // copy acc to vreg[14]
v_accvgpr_read_b32 v[vgprValuC+23], acc39 // copy acc to vreg[15]
s_nop 1                                            // 2 wait states required before reading vgpr

/* rC *= alpha batchElements=[(0, 0, 0, 0), (0, 1, 0, 0), (0, 2, 0, 0), (0, 3, 0, 0)] */
v_mul_f64 v[24:25], s[sgprAlpha+0:sgprAlpha+0+1], v[vgprValuC+8:vgprValuC+8+1] // 
v_mul_f64 v[26:27], s[sgprAlpha+2:sgprAlpha+2+1], v[vgprValuC+8:vgprValuC+8+1] // 
v_fma_f64 v[vgprValuC+8:vgprValuC+8+1], s[sgprAlpha+2:sgprAlpha+2+1], -v[vgprValuC+10:vgprValuC+10+1], v[24:25]
v_fma_f64 v[vgprValuC+10:vgprValuC+10+1], s[sgprAlpha+0:sgprAlpha+0+1], v[vgprValuC+10:vgprValuC+10+1], v[26:27]
v_mul_f64 v[24:25], s[sgprAlpha+0:sgprAlpha+0+1], v[vgprValuC+12:vgprValuC+12+1] // 
v_mul_f64 v[26:27], s[sgprAlpha+2:sgprAlpha+2+1], v[vgprValuC+12:vgprValuC+12+1] // 
v_fma_f64 v[vgprValuC+12:vgprValuC+12+1], s[sgprAlpha+2:sgprAlpha+2+1], -v[vgprValuC+14:vgprValuC+14+1], v[24:25]
v_fma_f64 v[vgprValuC+14:vgprValuC+14+1], s[sgprAlpha+0:sgprAlpha+0+1], v[vgprValuC+14:vgprValuC+14+1], v[26:27]
	;; [unrolled: 4-line block ×4, first 2 shown]

/* apply mask, calc new C and issue writes */
_buffer_store_b128 v[8:11], v6, s[sgprSrdD:sgprSrdD+3], 0, offen, offset:0 // store D
_buffer_store_b128 v[12:15], v6, s[sgprSrdD:sgprSrdD+3], 0, offen, offset:128 // store D
	;; [unrolled: 1-line block ×4, first 2 shown]
s_nop 0                                            // 1 wait state required when next inst writes vgprs held by previous dwordx4 store inst
/* optSingleColVgpr=1 optSharedColVgpr=0 optSGPRUsage=BufferLoad_Mask optSrdIncForRow=1 */

/******************************************/
/* Global Write Alpha Batch #1 (d1,d0,vc1,vc0) = */
/*    (0,4,0,0:vw1); (0,5,0,0:vw1); (0,6,0,0:vw1); (0,7,0,0:vw1) */
/******************************************/

/* calc coords, apply mask, and issue loads (if necessary) */
/* (d1,vc1,d0,vc0)=(0,0,4,0) */
/* (d1,vc1,d0,vc0)=(0,0,5,0) */
	;; [unrolled: 1-line block ×4, first 2 shown]
v_accvgpr_read_b32 v[vgprValuC+8], acc8 // copy acc to vreg[16]
v_accvgpr_read_b32 v[vgprValuC+9], acc9 // copy acc to vreg[17]
v_accvgpr_read_b32 v[vgprValuC+10], acc40 // copy acc to vreg[18]
v_accvgpr_read_b32 v[vgprValuC+11], acc41 // copy acc to vreg[19]
v_accvgpr_read_b32 v[vgprValuC+12], acc10 // copy acc to vreg[20]
v_accvgpr_read_b32 v[vgprValuC+13], acc11 // copy acc to vreg[21]
v_accvgpr_read_b32 v[vgprValuC+14], acc42 // copy acc to vreg[22]
v_accvgpr_read_b32 v[vgprValuC+15], acc43 // copy acc to vreg[23]
v_accvgpr_read_b32 v[vgprValuC+16], acc12 // copy acc to vreg[24]
v_accvgpr_read_b32 v[vgprValuC+17], acc13 // copy acc to vreg[25]
v_accvgpr_read_b32 v[vgprValuC+18], acc44 // copy acc to vreg[26]
v_accvgpr_read_b32 v[vgprValuC+19], acc45 // copy acc to vreg[27]
v_accvgpr_read_b32 v[vgprValuC+20], acc14 // copy acc to vreg[28]
v_accvgpr_read_b32 v[vgprValuC+21], acc15 // copy acc to vreg[29]
v_accvgpr_read_b32 v[vgprValuC+22], acc46 // copy acc to vreg[30]
v_accvgpr_read_b32 v[vgprValuC+23], acc47 // copy acc to vreg[31]
s_nop 1                                            // 2 wait states required before reading vgpr

/* rC *= alpha batchElements=[(0, 4, 0, 0), (0, 5, 0, 0), (0, 6, 0, 0), (0, 7, 0, 0)] */
v_mul_f64 v[24:25], s[sgprAlpha+0:sgprAlpha+0+1], v[vgprValuC+8:vgprValuC+8+1] // 
v_mul_f64 v[26:27], s[sgprAlpha+2:sgprAlpha+2+1], v[vgprValuC+8:vgprValuC+8+1] // 
v_fma_f64 v[vgprValuC+8:vgprValuC+8+1], s[sgprAlpha+2:sgprAlpha+2+1], -v[vgprValuC+10:vgprValuC+10+1], v[24:25]
v_fma_f64 v[vgprValuC+10:vgprValuC+10+1], s[sgprAlpha+0:sgprAlpha+0+1], v[vgprValuC+10:vgprValuC+10+1], v[26:27]
v_mul_f64 v[24:25], s[sgprAlpha+0:sgprAlpha+0+1], v[vgprValuC+12:vgprValuC+12+1] // 
v_mul_f64 v[26:27], s[sgprAlpha+2:sgprAlpha+2+1], v[vgprValuC+12:vgprValuC+12+1] // 
v_fma_f64 v[vgprValuC+12:vgprValuC+12+1], s[sgprAlpha+2:sgprAlpha+2+1], -v[vgprValuC+14:vgprValuC+14+1], v[24:25]
v_fma_f64 v[vgprValuC+14:vgprValuC+14+1], s[sgprAlpha+0:sgprAlpha+0+1], v[vgprValuC+14:vgprValuC+14+1], v[26:27]
	;; [unrolled: 4-line block ×4, first 2 shown]

/* apply mask, calc new C and issue writes */
_buffer_store_b128 v[8:11], v6, s[sgprSrdD:sgprSrdD+3], 0, offen, offset:512 // store D
_buffer_store_b128 v[12:15], v6, s[sgprSrdD:sgprSrdD+3], 0, offen, offset:640 // store D
	;; [unrolled: 1-line block ×4, first 2 shown]
s_nop 0                                            // 1 wait state required when next inst writes vgprs held by previous dwordx4 store inst
/* optSingleColVgpr=1 optSharedColVgpr=0 optSGPRUsage=BufferLoad_Mask optSrdIncForRow=1 */

/******************************************/
/* Global Write Alpha Batch #2 (d1,d0,vc1,vc0) = */
/*    (0,8,0,0:vw1); (0,9,0,0:vw1); (0,10,0,0:vw1); (0,11,0,0:vw1) */
/******************************************/

/* calc coords, apply mask, and issue loads (if necessary) */
/* (d1,vc1,d0,vc0)=(0,0,8,0) */
/* (d1,vc1,d0,vc0)=(0,0,9,0) */
	;; [unrolled: 1-line block ×4, first 2 shown]
v_accvgpr_read_b32 v[vgprValuC+8], acc16 // copy acc to vreg[32]
v_accvgpr_read_b32 v[vgprValuC+9], acc17 // copy acc to vreg[33]
v_accvgpr_read_b32 v[vgprValuC+10], acc48 // copy acc to vreg[34]
v_accvgpr_read_b32 v[vgprValuC+11], acc49 // copy acc to vreg[35]
v_accvgpr_read_b32 v[vgprValuC+12], acc18 // copy acc to vreg[36]
v_accvgpr_read_b32 v[vgprValuC+13], acc19 // copy acc to vreg[37]
v_accvgpr_read_b32 v[vgprValuC+14], acc50 // copy acc to vreg[38]
v_accvgpr_read_b32 v[vgprValuC+15], acc51 // copy acc to vreg[39]
v_accvgpr_read_b32 v[vgprValuC+16], acc20 // copy acc to vreg[40]
v_accvgpr_read_b32 v[vgprValuC+17], acc21 // copy acc to vreg[41]
v_accvgpr_read_b32 v[vgprValuC+18], acc52 // copy acc to vreg[42]
v_accvgpr_read_b32 v[vgprValuC+19], acc53 // copy acc to vreg[43]
v_accvgpr_read_b32 v[vgprValuC+20], acc22 // copy acc to vreg[44]
v_accvgpr_read_b32 v[vgprValuC+21], acc23 // copy acc to vreg[45]
v_accvgpr_read_b32 v[vgprValuC+22], acc54 // copy acc to vreg[46]
v_accvgpr_read_b32 v[vgprValuC+23], acc55 // copy acc to vreg[47]
s_nop 1                                            // 2 wait states required before reading vgpr

/* rC *= alpha batchElements=[(0, 8, 0, 0), (0, 9, 0, 0), (0, 10, 0, 0), (0, 11, 0, 0)] */
v_mul_f64 v[24:25], s[sgprAlpha+0:sgprAlpha+0+1], v[vgprValuC+8:vgprValuC+8+1] // 
v_mul_f64 v[26:27], s[sgprAlpha+2:sgprAlpha+2+1], v[vgprValuC+8:vgprValuC+8+1] // 
v_fma_f64 v[vgprValuC+8:vgprValuC+8+1], s[sgprAlpha+2:sgprAlpha+2+1], -v[vgprValuC+10:vgprValuC+10+1], v[24:25]
v_fma_f64 v[vgprValuC+10:vgprValuC+10+1], s[sgprAlpha+0:sgprAlpha+0+1], v[vgprValuC+10:vgprValuC+10+1], v[26:27]
v_mul_f64 v[24:25], s[sgprAlpha+0:sgprAlpha+0+1], v[vgprValuC+12:vgprValuC+12+1] // 
v_mul_f64 v[26:27], s[sgprAlpha+2:sgprAlpha+2+1], v[vgprValuC+12:vgprValuC+12+1] // 
v_fma_f64 v[vgprValuC+12:vgprValuC+12+1], s[sgprAlpha+2:sgprAlpha+2+1], -v[vgprValuC+14:vgprValuC+14+1], v[24:25]
v_fma_f64 v[vgprValuC+14:vgprValuC+14+1], s[sgprAlpha+0:sgprAlpha+0+1], v[vgprValuC+14:vgprValuC+14+1], v[26:27]
	;; [unrolled: 4-line block ×4, first 2 shown]

/* apply mask, calc new C and issue writes */
_buffer_store_b128 v[8:11], v6, s[sgprSrdD:sgprSrdD+3], 0, offen, offset:1024 // store D
_buffer_store_b128 v[12:15], v6, s[sgprSrdD:sgprSrdD+3], 0, offen, offset:1152 // store D
	;; [unrolled: 1-line block ×4, first 2 shown]
s_nop 0                                            // 1 wait state required when next inst writes vgprs held by previous dwordx4 store inst
/* optSingleColVgpr=1 optSharedColVgpr=0 optSGPRUsage=BufferLoad_Mask optSrdIncForRow=1 */

/******************************************/
/* Global Write Alpha Batch #3 (d1,d0,vc1,vc0) = */
/*    (0,12,0,0:vw1); (0,13,0,0:vw1); (0,14,0,0:vw1); (0,15,0,0:vw1) */
/******************************************/

/* calc coords, apply mask, and issue loads (if necessary) */
/* (d1,vc1,d0,vc0)=(0,0,12,0) */
/* (d1,vc1,d0,vc0)=(0,0,13,0) */
	;; [unrolled: 1-line block ×4, first 2 shown]
v_accvgpr_read_b32 v[vgprValuC+8], acc24 // copy acc to vreg[48]
v_accvgpr_read_b32 v[vgprValuC+9], acc25 // copy acc to vreg[49]
v_accvgpr_read_b32 v[vgprValuC+10], acc56 // copy acc to vreg[50]
v_accvgpr_read_b32 v[vgprValuC+11], acc57 // copy acc to vreg[51]
v_accvgpr_read_b32 v[vgprValuC+12], acc26 // copy acc to vreg[52]
v_accvgpr_read_b32 v[vgprValuC+13], acc27 // copy acc to vreg[53]
v_accvgpr_read_b32 v[vgprValuC+14], acc58 // copy acc to vreg[54]
v_accvgpr_read_b32 v[vgprValuC+15], acc59 // copy acc to vreg[55]
v_accvgpr_read_b32 v[vgprValuC+16], acc28 // copy acc to vreg[56]
v_accvgpr_read_b32 v[vgprValuC+17], acc29 // copy acc to vreg[57]
v_accvgpr_read_b32 v[vgprValuC+18], acc60 // copy acc to vreg[58]
v_accvgpr_read_b32 v[vgprValuC+19], acc61 // copy acc to vreg[59]
v_accvgpr_read_b32 v[vgprValuC+20], acc30 // copy acc to vreg[60]
v_accvgpr_read_b32 v[vgprValuC+21], acc31 // copy acc to vreg[61]
v_accvgpr_read_b32 v[vgprValuC+22], acc62 // copy acc to vreg[62]
v_accvgpr_read_b32 v[vgprValuC+23], acc63 // copy acc to vreg[63]
s_nop 1                                            // 2 wait states required before reading vgpr

/* rC *= alpha batchElements=[(0, 12, 0, 0), (0, 13, 0, 0), (0, 14, 0, 0), (0, 15, 0, 0)] */
v_mul_f64 v[24:25], s[sgprAlpha+0:sgprAlpha+0+1], v[vgprValuC+8:vgprValuC+8+1] // 
v_mul_f64 v[26:27], s[sgprAlpha+2:sgprAlpha+2+1], v[vgprValuC+8:vgprValuC+8+1] // 
v_fma_f64 v[vgprValuC+8:vgprValuC+8+1], s[sgprAlpha+2:sgprAlpha+2+1], -v[vgprValuC+10:vgprValuC+10+1], v[24:25]
v_fma_f64 v[vgprValuC+10:vgprValuC+10+1], s[sgprAlpha+0:sgprAlpha+0+1], v[vgprValuC+10:vgprValuC+10+1], v[26:27]
v_mul_f64 v[24:25], s[sgprAlpha+0:sgprAlpha+0+1], v[vgprValuC+12:vgprValuC+12+1] // 
v_mul_f64 v[26:27], s[sgprAlpha+2:sgprAlpha+2+1], v[vgprValuC+12:vgprValuC+12+1] // 
v_fma_f64 v[vgprValuC+12:vgprValuC+12+1], s[sgprAlpha+2:sgprAlpha+2+1], -v[vgprValuC+14:vgprValuC+14+1], v[24:25]
v_fma_f64 v[vgprValuC+14:vgprValuC+14+1], s[sgprAlpha+0:sgprAlpha+0+1], v[vgprValuC+14:vgprValuC+14+1], v[26:27]
	;; [unrolled: 4-line block ×4, first 2 shown]

/* apply mask, calc new C and issue writes */
_buffer_store_b128 v[8:11], v6, s[sgprSrdD:sgprSrdD+3], 0, offen, offset:1536 // store D
_buffer_store_b128 v[12:15], v6, s[sgprSrdD:sgprSrdD+3], 0, offen, offset:1664 // store D
	;; [unrolled: 1-line block ×4, first 2 shown]
s_nop 0                                            // 1 wait state required when next inst writes vgprs held by previous dwordx4 store inst
s_branch label_GW_End_48                           // jump to end
GW_B0_E1_40:

/* edge=1, allocate 6 sgpr. perBatchTmpS=4 perBatchMaskS=2 perElementMaskS=0 elementsPerBatch=4 */
/* optSingleColVgpr=0 optSharedColVgpr=0 optSGPRUsage=BufferLoad_Edge_Mask optSrdIncForRow=0 */

/******************************************/
/* Global Write Alpha Edge Batch #0 (d1,d0,vc1,vc0) = */
/*    (0,0,0,0:vw1); (0,1,0,0:vw1); (0,2,0,0:vw1); (0,3,0,0:vw1) */
/******************************************/

/* calc coords, apply mask, and issue loads (if necessary) */
/* (d1,vc1,d0,vc0)=(0,0,0,0) */
v_cmp_lt_u32 s[58:59], v0, s[sgprSizeI]            // coord0 < size0
v_cmp_lt_u32 s[62:63], v1, s[sgprSizeJ]            // coord1 < size1
s_and_b64 s[62:63], s[58:59], s[62:63]             // in0 && in1
_v_add_lshl_u32 v6, v3, v0, 0x4                    // scaleToBpe: accumulate d0 lower and *= bpe into Cin addr
v_cndmask_b32 v6, -1, v6, s[62:63]                 // LDD clip if OOB. offset
/* (d1,vc1,d0,vc0)=(0,0,1,0) */
_v_add_co_u32 v4, vcc, v0, 8                       // coord0.1: coord0 += d0*sg0*VW + vc0
v_cmp_lt_u32 s[58:59], v4, s[sgprSizeI]            // coord0 < size0
v_cmp_lt_u32 s[62:63], v1, s[sgprSizeJ]            // coord1 < size1
s_and_b64 s[62:63], s[58:59], s[62:63]             // in0 && in1
_v_add_lshl_u32 v7, v3, v4, 0x4                    // scaleToBpe: accumulate d0 lower and *= bpe into Cin addr
v_cndmask_b32 v7, -1, v7, s[62:63]                 // LDD clip if OOB. offset
/* (d1,vc1,d0,vc0)=(0,0,2,0) */
_v_add_co_u32 v4, vcc, v0, 16                      // coord0.1: coord0 += d0*sg0*VW + vc0
v_cmp_lt_u32 s[58:59], v4, s[sgprSizeI]            // coord0 < size0
v_cmp_lt_u32 s[62:63], v1, s[sgprSizeJ]            // coord1 < size1
s_and_b64 s[62:63], s[58:59], s[62:63]             // in0 && in1
_v_add_lshl_u32 v16, v3, v4, 0x4                   // scaleToBpe: accumulate d0 lower and *= bpe into Cin addr
v_cndmask_b32 v16, -1, v16, s[62:63]               // LDD clip if OOB. offset
/* (d1,vc1,d0,vc0)=(0,0,3,0) */
_v_add_co_u32 v4, vcc, v0, 24                      // coord0.1: coord0 += d0*sg0*VW + vc0
v_cmp_lt_u32 s[58:59], v4, s[sgprSizeI]            // coord0 < size0
v_cmp_lt_u32 s[62:63], v1, s[sgprSizeJ]            // coord1 < size1
s_and_b64 s[62:63], s[58:59], s[62:63]             // in0 && in1
_v_add_lshl_u32 v17, v3, v4, 0x4                   // scaleToBpe: accumulate d0 lower and *= bpe into Cin addr
v_cndmask_b32 v17, -1, v17, s[62:63]               // LDD clip if OOB. offset
v_accvgpr_read_b32 v[vgprValuC+8], acc0 // copy acc to vreg[0]
v_accvgpr_read_b32 v[vgprValuC+9], acc1 // copy acc to vreg[1]
v_accvgpr_read_b32 v[vgprValuC+10], acc32 // copy acc to vreg[2]
v_accvgpr_read_b32 v[vgprValuC+11], acc33 // copy acc to vreg[3]
v_accvgpr_read_b32 v[vgprValuC+12], acc2 // copy acc to vreg[4]
v_accvgpr_read_b32 v[vgprValuC+13], acc3 // copy acc to vreg[5]
v_accvgpr_read_b32 v[vgprValuC+14], acc34 // copy acc to vreg[6]
v_accvgpr_read_b32 v[vgprValuC+15], acc35 // copy acc to vreg[7]
v_accvgpr_read_b32 v[vgprValuC+20], acc4 // copy acc to vreg[8]
v_accvgpr_read_b32 v[vgprValuC+21], acc5 // copy acc to vreg[9]
v_accvgpr_read_b32 v[vgprValuC+22], acc36 // copy acc to vreg[10]
v_accvgpr_read_b32 v[vgprValuC+23], acc37 // copy acc to vreg[11]
v_accvgpr_read_b32 v[vgprValuC+24], acc6 // copy acc to vreg[12]
v_accvgpr_read_b32 v[vgprValuC+25], acc7 // copy acc to vreg[13]
v_accvgpr_read_b32 v[vgprValuC+26], acc38 // copy acc to vreg[14]
v_accvgpr_read_b32 v[vgprValuC+27], acc39 // copy acc to vreg[15]
s_nop 1                                            // 2 wait states required before reading vgpr

/* rC *= alpha batchElements=[(0, 0, 0, 0), (0, 1, 0, 0), (0, 2, 0, 0), (0, 3, 0, 0)] */
v_mul_f64 v[18:19], s[sgprAlpha+0:sgprAlpha+0+1], v[vgprValuC+8:vgprValuC+8+1] // 
v_mul_f64 v[28:29], s[sgprAlpha+2:sgprAlpha+2+1], v[vgprValuC+8:vgprValuC+8+1] // 
v_fma_f64 v[vgprValuC+8:vgprValuC+8+1], s[sgprAlpha+2:sgprAlpha+2+1], -v[vgprValuC+10:vgprValuC+10+1], v[18:19]
v_fma_f64 v[vgprValuC+10:vgprValuC+10+1], s[sgprAlpha+0:sgprAlpha+0+1], v[vgprValuC+10:vgprValuC+10+1], v[28:29]
v_mul_f64 v[18:19], s[sgprAlpha+0:sgprAlpha+0+1], v[vgprValuC+12:vgprValuC+12+1] // 
v_mul_f64 v[28:29], s[sgprAlpha+2:sgprAlpha+2+1], v[vgprValuC+12:vgprValuC+12+1] // 
v_fma_f64 v[vgprValuC+12:vgprValuC+12+1], s[sgprAlpha+2:sgprAlpha+2+1], -v[vgprValuC+14:vgprValuC+14+1], v[18:19]
v_fma_f64 v[vgprValuC+14:vgprValuC+14+1], s[sgprAlpha+0:sgprAlpha+0+1], v[vgprValuC+14:vgprValuC+14+1], v[28:29]
	;; [unrolled: 4-line block ×4, first 2 shown]

/* apply mask, calc new C and issue writes */
_buffer_store_b128 v[8:11], v6, s[sgprSrdD:sgprSrdD+3], 0, offen, offset:0 // store D
_buffer_store_b128 v[12:15], v7, s[sgprSrdD:sgprSrdD+3], 0, offen, offset:0 // store D
	;; [unrolled: 1-line block ×4, first 2 shown]
s_nop 0                                            // 1 wait state required when next inst writes vgprs held by previous dwordx4 store inst
/* optSingleColVgpr=0 optSharedColVgpr=0 optSGPRUsage=BufferLoad_Edge_Mask optSrdIncForRow=0 */

/******************************************/
/* Global Write Alpha Edge Batch #1 (d1,d0,vc1,vc0) = */
/*    (0,4,0,0:vw1); (0,5,0,0:vw1); (0,6,0,0:vw1); (0,7,0,0:vw1) */
/******************************************/

/* calc coords, apply mask, and issue loads (if necessary) */
/* (d1,vc1,d0,vc0)=(0,0,4,0) */
_v_add_co_u32 v4, vcc, v0, 32                      // coord0.1: coord0 += d0*sg0*VW + vc0
v_cmp_lt_u32 s[58:59], v4, s[sgprSizeI]            // coord0 < size0
v_cmp_lt_u32 s[62:63], v1, s[sgprSizeJ]            // coord1 < size1
s_and_b64 s[62:63], s[58:59], s[62:63]             // in0 && in1
_v_add_lshl_u32 v6, v3, v4, 0x4                    // scaleToBpe: accumulate d0 lower and *= bpe into Cin addr
v_cndmask_b32 v6, -1, v6, s[62:63]                 // LDD clip if OOB. offset
/* (d1,vc1,d0,vc0)=(0,0,5,0) */
_v_add_co_u32 v4, vcc, v0, 40                      // coord0.1: coord0 += d0*sg0*VW + vc0
v_cmp_lt_u32 s[58:59], v4, s[sgprSizeI]            // coord0 < size0
v_cmp_lt_u32 s[62:63], v1, s[sgprSizeJ]            // coord1 < size1
s_and_b64 s[62:63], s[58:59], s[62:63]             // in0 && in1
_v_add_lshl_u32 v7, v3, v4, 0x4                    // scaleToBpe: accumulate d0 lower and *= bpe into Cin addr
v_cndmask_b32 v7, -1, v7, s[62:63]                 // LDD clip if OOB. offset
/* (d1,vc1,d0,vc0)=(0,0,6,0) */
_v_add_co_u32 v4, vcc, v0, 48                      // coord0.1: coord0 += d0*sg0*VW + vc0
v_cmp_lt_u32 s[58:59], v4, s[sgprSizeI]            // coord0 < size0
v_cmp_lt_u32 s[62:63], v1, s[sgprSizeJ]            // coord1 < size1
s_and_b64 s[62:63], s[58:59], s[62:63]             // in0 && in1
_v_add_lshl_u32 v16, v3, v4, 0x4                   // scaleToBpe: accumulate d0 lower and *= bpe into Cin addr
v_cndmask_b32 v16, -1, v16, s[62:63]               // LDD clip if OOB. offset
/* (d1,vc1,d0,vc0)=(0,0,7,0) */
_v_add_co_u32 v4, vcc, v0, 56                      // coord0.1: coord0 += d0*sg0*VW + vc0
v_cmp_lt_u32 s[58:59], v4, s[sgprSizeI]            // coord0 < size0
v_cmp_lt_u32 s[62:63], v1, s[sgprSizeJ]            // coord1 < size1
s_and_b64 s[62:63], s[58:59], s[62:63]             // in0 && in1
_v_add_lshl_u32 v17, v3, v4, 0x4                   // scaleToBpe: accumulate d0 lower and *= bpe into Cin addr
v_cndmask_b32 v17, -1, v17, s[62:63]               // LDD clip if OOB. offset
v_accvgpr_read_b32 v[vgprValuC+8], acc8 // copy acc to vreg[16]
v_accvgpr_read_b32 v[vgprValuC+9], acc9 // copy acc to vreg[17]
v_accvgpr_read_b32 v[vgprValuC+10], acc40 // copy acc to vreg[18]
v_accvgpr_read_b32 v[vgprValuC+11], acc41 // copy acc to vreg[19]
v_accvgpr_read_b32 v[vgprValuC+12], acc10 // copy acc to vreg[20]
v_accvgpr_read_b32 v[vgprValuC+13], acc11 // copy acc to vreg[21]
v_accvgpr_read_b32 v[vgprValuC+14], acc42 // copy acc to vreg[22]
v_accvgpr_read_b32 v[vgprValuC+15], acc43 // copy acc to vreg[23]
v_accvgpr_read_b32 v[vgprValuC+20], acc12 // copy acc to vreg[24]
v_accvgpr_read_b32 v[vgprValuC+21], acc13 // copy acc to vreg[25]
v_accvgpr_read_b32 v[vgprValuC+22], acc44 // copy acc to vreg[26]
v_accvgpr_read_b32 v[vgprValuC+23], acc45 // copy acc to vreg[27]
v_accvgpr_read_b32 v[vgprValuC+24], acc14 // copy acc to vreg[28]
v_accvgpr_read_b32 v[vgprValuC+25], acc15 // copy acc to vreg[29]
v_accvgpr_read_b32 v[vgprValuC+26], acc46 // copy acc to vreg[30]
v_accvgpr_read_b32 v[vgprValuC+27], acc47 // copy acc to vreg[31]
s_nop 1                                            // 2 wait states required before reading vgpr

/* rC *= alpha batchElements=[(0, 4, 0, 0), (0, 5, 0, 0), (0, 6, 0, 0), (0, 7, 0, 0)] */
v_mul_f64 v[18:19], s[sgprAlpha+0:sgprAlpha+0+1], v[vgprValuC+8:vgprValuC+8+1] // 
v_mul_f64 v[28:29], s[sgprAlpha+2:sgprAlpha+2+1], v[vgprValuC+8:vgprValuC+8+1] // 
v_fma_f64 v[vgprValuC+8:vgprValuC+8+1], s[sgprAlpha+2:sgprAlpha+2+1], -v[vgprValuC+10:vgprValuC+10+1], v[18:19]
v_fma_f64 v[vgprValuC+10:vgprValuC+10+1], s[sgprAlpha+0:sgprAlpha+0+1], v[vgprValuC+10:vgprValuC+10+1], v[28:29]
v_mul_f64 v[18:19], s[sgprAlpha+0:sgprAlpha+0+1], v[vgprValuC+12:vgprValuC+12+1] // 
v_mul_f64 v[28:29], s[sgprAlpha+2:sgprAlpha+2+1], v[vgprValuC+12:vgprValuC+12+1] // 
v_fma_f64 v[vgprValuC+12:vgprValuC+12+1], s[sgprAlpha+2:sgprAlpha+2+1], -v[vgprValuC+14:vgprValuC+14+1], v[18:19]
v_fma_f64 v[vgprValuC+14:vgprValuC+14+1], s[sgprAlpha+0:sgprAlpha+0+1], v[vgprValuC+14:vgprValuC+14+1], v[28:29]
	;; [unrolled: 4-line block ×4, first 2 shown]

/* apply mask, calc new C and issue writes */
_buffer_store_b128 v[8:11], v6, s[sgprSrdD:sgprSrdD+3], 0, offen, offset:0 // store D
_buffer_store_b128 v[12:15], v7, s[sgprSrdD:sgprSrdD+3], 0, offen, offset:0 // store D
	;; [unrolled: 1-line block ×4, first 2 shown]
s_nop 0                                            // 1 wait state required when next inst writes vgprs held by previous dwordx4 store inst
/* optSingleColVgpr=0 optSharedColVgpr=0 optSGPRUsage=BufferLoad_Edge_Mask optSrdIncForRow=0 */

/******************************************/
/* Global Write Alpha Edge Batch #2 (d1,d0,vc1,vc0) = */
/*    (0,8,0,0:vw1); (0,9,0,0:vw1); (0,10,0,0:vw1); (0,11,0,0:vw1) */
/******************************************/

/* calc coords, apply mask, and issue loads (if necessary) */
/* (d1,vc1,d0,vc0)=(0,0,8,0) */
_v_add_co_u32 v4, vcc, v0, 64                      // coord0.1: coord0 += d0*sg0*VW + vc0
v_cmp_lt_u32 s[58:59], v4, s[sgprSizeI]            // coord0 < size0
v_cmp_lt_u32 s[62:63], v1, s[sgprSizeJ]            // coord1 < size1
s_and_b64 s[62:63], s[58:59], s[62:63]             // in0 && in1
_v_add_lshl_u32 v6, v3, v4, 0x4                    // scaleToBpe: accumulate d0 lower and *= bpe into Cin addr
v_cndmask_b32 v6, -1, v6, s[62:63]                 // LDD clip if OOB. offset
/* (d1,vc1,d0,vc0)=(0,0,9,0) */
s_mov_b32 s58, 72                                  // coordOffset0 d0=9 vc0=0
_v_add_co_u32 v4, vcc, v0, s58                     // coord0.2: coord0 += d0*sg0*VW + vc0
v_cmp_lt_u32 s[58:59], v4, s[sgprSizeI]            // coord0 < size0
v_cmp_lt_u32 s[62:63], v1, s[sgprSizeJ]            // coord1 < size1
s_and_b64 s[62:63], s[58:59], s[62:63]             // in0 && in1
_v_add_lshl_u32 v7, v3, v4, 0x4                    // scaleToBpe: accumulate d0 lower and *= bpe into Cin addr
v_cndmask_b32 v7, -1, v7, s[62:63]                 // LDD clip if OOB. offset
/* (d1,vc1,d0,vc0)=(0,0,10,0) */
s_mov_b32 s58, 80                                  // coordOffset0 d0=10 vc0=0
_v_add_co_u32 v4, vcc, v0, s58                     // coord0.2: coord0 += d0*sg0*VW + vc0
v_cmp_lt_u32 s[58:59], v4, s[sgprSizeI]            // coord0 < size0
v_cmp_lt_u32 s[62:63], v1, s[sgprSizeJ]            // coord1 < size1
s_and_b64 s[62:63], s[58:59], s[62:63]             // in0 && in1
_v_add_lshl_u32 v16, v3, v4, 0x4                   // scaleToBpe: accumulate d0 lower and *= bpe into Cin addr
v_cndmask_b32 v16, -1, v16, s[62:63]               // LDD clip if OOB. offset
/* (d1,vc1,d0,vc0)=(0,0,11,0) */
s_mov_b32 s58, 88                                  // coordOffset0 d0=11 vc0=0
_v_add_co_u32 v4, vcc, v0, s58                     // coord0.2: coord0 += d0*sg0*VW + vc0
v_cmp_lt_u32 s[58:59], v4, s[sgprSizeI]            // coord0 < size0
v_cmp_lt_u32 s[62:63], v1, s[sgprSizeJ]            // coord1 < size1
s_and_b64 s[62:63], s[58:59], s[62:63]             // in0 && in1
_v_add_lshl_u32 v17, v3, v4, 0x4                   // scaleToBpe: accumulate d0 lower and *= bpe into Cin addr
v_cndmask_b32 v17, -1, v17, s[62:63]               // LDD clip if OOB. offset
v_accvgpr_read_b32 v[vgprValuC+8], acc16 // copy acc to vreg[32]
v_accvgpr_read_b32 v[vgprValuC+9], acc17 // copy acc to vreg[33]
v_accvgpr_read_b32 v[vgprValuC+10], acc48 // copy acc to vreg[34]
v_accvgpr_read_b32 v[vgprValuC+11], acc49 // copy acc to vreg[35]
v_accvgpr_read_b32 v[vgprValuC+12], acc18 // copy acc to vreg[36]
v_accvgpr_read_b32 v[vgprValuC+13], acc19 // copy acc to vreg[37]
v_accvgpr_read_b32 v[vgprValuC+14], acc50 // copy acc to vreg[38]
v_accvgpr_read_b32 v[vgprValuC+15], acc51 // copy acc to vreg[39]
v_accvgpr_read_b32 v[vgprValuC+20], acc20 // copy acc to vreg[40]
v_accvgpr_read_b32 v[vgprValuC+21], acc21 // copy acc to vreg[41]
v_accvgpr_read_b32 v[vgprValuC+22], acc52 // copy acc to vreg[42]
v_accvgpr_read_b32 v[vgprValuC+23], acc53 // copy acc to vreg[43]
v_accvgpr_read_b32 v[vgprValuC+24], acc22 // copy acc to vreg[44]
v_accvgpr_read_b32 v[vgprValuC+25], acc23 // copy acc to vreg[45]
v_accvgpr_read_b32 v[vgprValuC+26], acc54 // copy acc to vreg[46]
v_accvgpr_read_b32 v[vgprValuC+27], acc55 // copy acc to vreg[47]
s_nop 1                                            // 2 wait states required before reading vgpr

/* rC *= alpha batchElements=[(0, 8, 0, 0), (0, 9, 0, 0), (0, 10, 0, 0), (0, 11, 0, 0)] */
v_mul_f64 v[18:19], s[sgprAlpha+0:sgprAlpha+0+1], v[vgprValuC+8:vgprValuC+8+1] // 
v_mul_f64 v[28:29], s[sgprAlpha+2:sgprAlpha+2+1], v[vgprValuC+8:vgprValuC+8+1] // 
v_fma_f64 v[vgprValuC+8:vgprValuC+8+1], s[sgprAlpha+2:sgprAlpha+2+1], -v[vgprValuC+10:vgprValuC+10+1], v[18:19]
v_fma_f64 v[vgprValuC+10:vgprValuC+10+1], s[sgprAlpha+0:sgprAlpha+0+1], v[vgprValuC+10:vgprValuC+10+1], v[28:29]
v_mul_f64 v[18:19], s[sgprAlpha+0:sgprAlpha+0+1], v[vgprValuC+12:vgprValuC+12+1] // 
v_mul_f64 v[28:29], s[sgprAlpha+2:sgprAlpha+2+1], v[vgprValuC+12:vgprValuC+12+1] // 
v_fma_f64 v[vgprValuC+12:vgprValuC+12+1], s[sgprAlpha+2:sgprAlpha+2+1], -v[vgprValuC+14:vgprValuC+14+1], v[18:19]
v_fma_f64 v[vgprValuC+14:vgprValuC+14+1], s[sgprAlpha+0:sgprAlpha+0+1], v[vgprValuC+14:vgprValuC+14+1], v[28:29]
	;; [unrolled: 4-line block ×4, first 2 shown]

/* apply mask, calc new C and issue writes */
_buffer_store_b128 v[8:11], v6, s[sgprSrdD:sgprSrdD+3], 0, offen, offset:0 // store D
_buffer_store_b128 v[12:15], v7, s[sgprSrdD:sgprSrdD+3], 0, offen, offset:0 // store D
	;; [unrolled: 1-line block ×4, first 2 shown]
s_nop 0                                            // 1 wait state required when next inst writes vgprs held by previous dwordx4 store inst
/* optSingleColVgpr=0 optSharedColVgpr=0 optSGPRUsage=BufferLoad_Edge_Mask optSrdIncForRow=0 */

/******************************************/
/* Global Write Alpha Edge Batch #3 (d1,d0,vc1,vc0) = */
/*    (0,12,0,0:vw1); (0,13,0,0:vw1); (0,14,0,0:vw1); (0,15,0,0:vw1) */
/******************************************/

/* calc coords, apply mask, and issue loads (if necessary) */
/* (d1,vc1,d0,vc0)=(0,0,12,0) */
s_mov_b32 s58, 96                                  // coordOffset0 d0=12 vc0=0
_v_add_co_u32 v4, vcc, v0, s58                     // coord0.2: coord0 += d0*sg0*VW + vc0
v_cmp_lt_u32 s[58:59], v4, s[sgprSizeI]            // coord0 < size0
v_cmp_lt_u32 s[62:63], v1, s[sgprSizeJ]            // coord1 < size1
s_and_b64 s[62:63], s[58:59], s[62:63]             // in0 && in1
_v_add_lshl_u32 v6, v3, v4, 0x4                    // scaleToBpe: accumulate d0 lower and *= bpe into Cin addr
v_cndmask_b32 v6, -1, v6, s[62:63]                 // LDD clip if OOB. offset
/* (d1,vc1,d0,vc0)=(0,0,13,0) */
s_mov_b32 s58, 104                                 // coordOffset0 d0=13 vc0=0
_v_add_co_u32 v4, vcc, v0, s58                     // coord0.2: coord0 += d0*sg0*VW + vc0
v_cmp_lt_u32 s[58:59], v4, s[sgprSizeI]            // coord0 < size0
v_cmp_lt_u32 s[62:63], v1, s[sgprSizeJ]            // coord1 < size1
s_and_b64 s[62:63], s[58:59], s[62:63]             // in0 && in1
_v_add_lshl_u32 v7, v3, v4, 0x4                    // scaleToBpe: accumulate d0 lower and *= bpe into Cin addr
v_cndmask_b32 v7, -1, v7, s[62:63]                 // LDD clip if OOB. offset
/* (d1,vc1,d0,vc0)=(0,0,14,0) */
s_mov_b32 s58, 112                                 // coordOffset0 d0=14 vc0=0
_v_add_co_u32 v4, vcc, v0, s58                     // coord0.2: coord0 += d0*sg0*VW + vc0
v_cmp_lt_u32 s[58:59], v4, s[sgprSizeI]            // coord0 < size0
v_cmp_lt_u32 s[62:63], v1, s[sgprSizeJ]            // coord1 < size1
s_and_b64 s[62:63], s[58:59], s[62:63]             // in0 && in1
_v_add_lshl_u32 v16, v3, v4, 0x4                   // scaleToBpe: accumulate d0 lower and *= bpe into Cin addr
v_cndmask_b32 v16, -1, v16, s[62:63]               // LDD clip if OOB. offset
/* (d1,vc1,d0,vc0)=(0,0,15,0) */
s_mov_b32 s58, 120                                 // coordOffset0 d0=15 vc0=0
_v_add_co_u32 v4, vcc, v0, s58                     // coord0.2: coord0 += d0*sg0*VW + vc0
v_cmp_lt_u32 s[58:59], v4, s[sgprSizeI]            // coord0 < size0
v_cmp_lt_u32 s[62:63], v1, s[sgprSizeJ]            // coord1 < size1
s_and_b64 s[62:63], s[58:59], s[62:63]             // in0 && in1
_v_add_lshl_u32 v17, v3, v4, 0x4                   // scaleToBpe: accumulate d0 lower and *= bpe into Cin addr
v_cndmask_b32 v17, -1, v17, s[62:63]               // LDD clip if OOB. offset
v_accvgpr_read_b32 v[vgprValuC+8], acc24 // copy acc to vreg[48]
v_accvgpr_read_b32 v[vgprValuC+9], acc25 // copy acc to vreg[49]
v_accvgpr_read_b32 v[vgprValuC+10], acc56 // copy acc to vreg[50]
v_accvgpr_read_b32 v[vgprValuC+11], acc57 // copy acc to vreg[51]
v_accvgpr_read_b32 v[vgprValuC+12], acc26 // copy acc to vreg[52]
v_accvgpr_read_b32 v[vgprValuC+13], acc27 // copy acc to vreg[53]
v_accvgpr_read_b32 v[vgprValuC+14], acc58 // copy acc to vreg[54]
v_accvgpr_read_b32 v[vgprValuC+15], acc59 // copy acc to vreg[55]
v_accvgpr_read_b32 v[vgprValuC+20], acc28 // copy acc to vreg[56]
v_accvgpr_read_b32 v[vgprValuC+21], acc29 // copy acc to vreg[57]
v_accvgpr_read_b32 v[vgprValuC+22], acc60 // copy acc to vreg[58]
v_accvgpr_read_b32 v[vgprValuC+23], acc61 // copy acc to vreg[59]
v_accvgpr_read_b32 v[vgprValuC+24], acc30 // copy acc to vreg[60]
v_accvgpr_read_b32 v[vgprValuC+25], acc31 // copy acc to vreg[61]
v_accvgpr_read_b32 v[vgprValuC+26], acc62 // copy acc to vreg[62]
v_accvgpr_read_b32 v[vgprValuC+27], acc63 // copy acc to vreg[63]
s_nop 1                                            // 2 wait states required before reading vgpr

/* rC *= alpha batchElements=[(0, 12, 0, 0), (0, 13, 0, 0), (0, 14, 0, 0), (0, 15, 0, 0)] */
v_mul_f64 v[18:19], s[sgprAlpha+0:sgprAlpha+0+1], v[vgprValuC+8:vgprValuC+8+1] // 
v_mul_f64 v[28:29], s[sgprAlpha+2:sgprAlpha+2+1], v[vgprValuC+8:vgprValuC+8+1] // 
v_fma_f64 v[vgprValuC+8:vgprValuC+8+1], s[sgprAlpha+2:sgprAlpha+2+1], -v[vgprValuC+10:vgprValuC+10+1], v[18:19]
v_fma_f64 v[vgprValuC+10:vgprValuC+10+1], s[sgprAlpha+0:sgprAlpha+0+1], v[vgprValuC+10:vgprValuC+10+1], v[28:29]
v_mul_f64 v[18:19], s[sgprAlpha+0:sgprAlpha+0+1], v[vgprValuC+12:vgprValuC+12+1] // 
v_mul_f64 v[28:29], s[sgprAlpha+2:sgprAlpha+2+1], v[vgprValuC+12:vgprValuC+12+1] // 
v_fma_f64 v[vgprValuC+12:vgprValuC+12+1], s[sgprAlpha+2:sgprAlpha+2+1], -v[vgprValuC+14:vgprValuC+14+1], v[18:19]
v_fma_f64 v[vgprValuC+14:vgprValuC+14+1], s[sgprAlpha+0:sgprAlpha+0+1], v[vgprValuC+14:vgprValuC+14+1], v[28:29]
	;; [unrolled: 4-line block ×4, first 2 shown]

/* apply mask, calc new C and issue writes */
_buffer_store_b128 v[8:11], v6, s[sgprSrdD:sgprSrdD+3], 0, offen, offset:0 // store D
_buffer_store_b128 v[12:15], v7, s[sgprSrdD:sgprSrdD+3], 0, offen, offset:0 // store D
	;; [unrolled: 1-line block ×4, first 2 shown]
s_nop 0                                            // 1 wait state required when next inst writes vgprs held by previous dwordx4 store inst
s_branch label_GW_End_48                           // jump to end
GW_Beta_49:
s_and_b32 s32, 127, s[sgprSizeI]                   // s32 = s[sgprSizeI] % 128
s_add_u32 s33, -0x1, s[sgprNumWorkGroups0]         // 
s_cmp_ge_u32 s[sgprWorkGroup0], s33                // wg0 >= nwg0-1 ?
s_cselect_b32 s32, s32, 0                          // set rMT0
s_cmpk_gt_u32 s32, 0x0                             // rMT0 > 0
s_cbranch_scc1 GW_B1_E1_47                         // jump if edges required
s_and_b32 s32, 7, s[sgprSizeJ]                     // s32 = s[sgprSizeJ] % 8
s_add_u32 s33, -0x1, s[sgprNumWorkGroups1]         // 
s_cmp_ge_u32 s[sgprWorkGroup1], s33                // wg1 >= nwg1-1
s_cselect_b32 s32, s32, 0                          // set rMT1
s_cmpk_gt_u32 s32, 0x0                             // rMT1 > 0
s_cbranch_scc1 GW_B1_E1_47                         // jump if edges required
GW_B1_E0_44:

/* edge=0, allocate 2 sgpr. perBatchTmpS=2 perBatchMaskS=0 perElementMaskS=0 elementsPerBatch=4 */
/* optSingleColVgpr=1 optSharedColVgpr=0 optSGPRUsage=BufferLoad_Mask optSrdIncForRow=1 */

/******************************************/
/* Global Write Alpha Beta Batch #0 (d1,d0,vc1,vc0) = */
/*    (0,0,0,0:vw1); (0,1,0,0:vw1); (0,2,0,0:vw1); (0,3,0,0:vw1) */
/******************************************/

/* calc coords, apply mask, and issue loads (if necessary) */
/* (d1,vc1,d0,vc0)=(0,0,0,0) */
_v_add_lshl_u32 v7, v2, v0, 0x4                    // optSingleColVgpr scaleToBpe: sharedAddrVgpr <- cinRowPtr + coord0, scaled by BPE. BSHERE:coord0=0, coord0Vgpr=0
_buffer_load_b128 v[8:11], v7, s[sgprSrdC:sgprSrdC+3], 0, offen offset:0 // load C for beta calc
/* (d1,vc1,d0,vc0)=(0,0,1,0) */
_buffer_load_b128 v[16:19], v7, s[sgprSrdC:sgprSrdC+3], 0, offen offset:128 // load C for beta calc
/* (d1,vc1,d0,vc0)=(0,0,2,0) */
	;; [unrolled: 2-line block ×3, first 2 shown]
_buffer_load_b128 v[32:35], v7, s[sgprSrdC:sgprSrdC+3], 0, offen offset:384 // load C for beta calc
_v_add_lshl_u32 v6, v3, v0, 0x4                    // optSingleColVgpr scaleToBpe: sharedAddrVgpr <- cinRowPtr + coord0, scaled by BPE. BSHERE:coord0=0, coord0Vgpr=0
v_accvgpr_read_b32 v[vgprValuC+12], acc0 // copy acc to vreg[0]
v_accvgpr_read_b32 v[vgprValuC+13], acc1 // copy acc to vreg[1]
v_accvgpr_read_b32 v[vgprValuC+14], acc32 // copy acc to vreg[2]
v_accvgpr_read_b32 v[vgprValuC+15], acc33 // copy acc to vreg[3]
v_accvgpr_read_b32 v[vgprValuC+20], acc2 // copy acc to vreg[4]
v_accvgpr_read_b32 v[vgprValuC+21], acc3 // copy acc to vreg[5]
v_accvgpr_read_b32 v[vgprValuC+22], acc34 // copy acc to vreg[6]
v_accvgpr_read_b32 v[vgprValuC+23], acc35 // copy acc to vreg[7]
v_accvgpr_read_b32 v[vgprValuC+28], acc4 // copy acc to vreg[8]
v_accvgpr_read_b32 v[vgprValuC+29], acc5 // copy acc to vreg[9]
v_accvgpr_read_b32 v[vgprValuC+30], acc36 // copy acc to vreg[10]
v_accvgpr_read_b32 v[vgprValuC+31], acc37 // copy acc to vreg[11]
v_accvgpr_read_b32 v[vgprValuC+36], acc6 // copy acc to vreg[12]
v_accvgpr_read_b32 v[vgprValuC+37], acc7 // copy acc to vreg[13]
v_accvgpr_read_b32 v[vgprValuC+38], acc38 // copy acc to vreg[14]
v_accvgpr_read_b32 v[vgprValuC+39], acc39 // copy acc to vreg[15]
s_nop 1                                            // 2 wait states required before reading vgpr

/* rC *= alpha batchElements=[(0, 0, 0, 0), (0, 1, 0, 0), (0, 2, 0, 0), (0, 3, 0, 0)] */
v_mul_f64 v[40:41], s[sgprAlpha+0:sgprAlpha+0+1], v[vgprValuC+12:vgprValuC+12+1] // 
v_mul_f64 v[42:43], s[sgprAlpha+2:sgprAlpha+2+1], v[vgprValuC+12:vgprValuC+12+1] // 
v_fma_f64 v[vgprValuC+12:vgprValuC+12+1], s[sgprAlpha+2:sgprAlpha+2+1], -v[vgprValuC+14:vgprValuC+14+1], v[40:41]
v_fma_f64 v[vgprValuC+14:vgprValuC+14+1], s[sgprAlpha+0:sgprAlpha+0+1], v[vgprValuC+14:vgprValuC+14+1], v[42:43]
v_mul_f64 v[40:41], s[sgprAlpha+0:sgprAlpha+0+1], v[vgprValuC+20:vgprValuC+20+1] // 
v_mul_f64 v[42:43], s[sgprAlpha+2:sgprAlpha+2+1], v[vgprValuC+20:vgprValuC+20+1] // 
v_fma_f64 v[vgprValuC+20:vgprValuC+20+1], s[sgprAlpha+2:sgprAlpha+2+1], -v[vgprValuC+22:vgprValuC+22+1], v[40:41]
v_fma_f64 v[vgprValuC+22:vgprValuC+22+1], s[sgprAlpha+0:sgprAlpha+0+1], v[vgprValuC+22:vgprValuC+22+1], v[42:43]
	;; [unrolled: 4-line block ×4, first 2 shown]

/* apply mask, calc new C and issue writes */

s_waitcnt vmcnt(3)                                 // wait C (interleaved) 3 = 4 - 0 + 0 - 1
v_fma_f64 v[vgprValuC+12:vgprValuC+12+1], v[8:9], s[sgprBeta+0:sgprBeta+0+1], v[vgprValuC+12:vgprValuC+12+1]
v_fma_f64 v[vgprValuC+12:vgprValuC+12+1], v[10:11], -s[sgprBeta+2:sgprBeta+2+1], v[vgprValuC+12:vgprValuC+12+1]
v_fma_f64 v[vgprValuC+14:vgprValuC+14+1], v[8:9], s[sgprBeta+2:sgprBeta+2+1], v[vgprValuC+14:vgprValuC+14+1]
v_fma_f64 v[vgprValuC+14:vgprValuC+14+1], v[10:11], s[sgprBeta+0:sgprBeta+0+1], v[vgprValuC+14:vgprValuC+14+1]
_buffer_store_b128 v[12:15], v6, s[sgprSrdD:sgprSrdD+3], 0, offen, offset:0 // store D

s_waitcnt vmcnt(3)                                 // wait C (interleaved) 3 = 4 - 1 + 1 - 1
v_fma_f64 v[vgprValuC+20:vgprValuC+20+1], v[16:17], s[sgprBeta+0:sgprBeta+0+1], v[vgprValuC+20:vgprValuC+20+1]
v_fma_f64 v[vgprValuC+20:vgprValuC+20+1], v[18:19], -s[sgprBeta+2:sgprBeta+2+1], v[vgprValuC+20:vgprValuC+20+1]
v_fma_f64 v[vgprValuC+22:vgprValuC+22+1], v[16:17], s[sgprBeta+2:sgprBeta+2+1], v[vgprValuC+22:vgprValuC+22+1]
v_fma_f64 v[vgprValuC+22:vgprValuC+22+1], v[18:19], s[sgprBeta+0:sgprBeta+0+1], v[vgprValuC+22:vgprValuC+22+1]
_buffer_store_b128 v[20:23], v6, s[sgprSrdD:sgprSrdD+3], 0, offen, offset:128 // store D
	;; [unrolled: 7-line block ×4, first 2 shown]
s_nop 0                                            // 1 wait state required when next inst writes vgprs held by previous dwordx4 store inst
/* optSingleColVgpr=1 optSharedColVgpr=0 optSGPRUsage=BufferLoad_Mask optSrdIncForRow=1 */

/******************************************/
/* Global Write Alpha Beta Batch #1 (d1,d0,vc1,vc0) = */
/*    (0,4,0,0:vw1); (0,5,0,0:vw1); (0,6,0,0:vw1); (0,7,0,0:vw1) */
/******************************************/

/* calc coords, apply mask, and issue loads (if necessary) */
/* (d1,vc1,d0,vc0)=(0,0,4,0) */
_buffer_load_b128 v[8:11], v7, s[sgprSrdC:sgprSrdC+3], 0, offen offset:512 // load C for beta calc
/* (d1,vc1,d0,vc0)=(0,0,5,0) */
_buffer_load_b128 v[16:19], v7, s[sgprSrdC:sgprSrdC+3], 0, offen offset:640 // load C for beta calc
	;; [unrolled: 2-line block ×4, first 2 shown]
v_accvgpr_read_b32 v[vgprValuC+12], acc8 // copy acc to vreg[16]
v_accvgpr_read_b32 v[vgprValuC+13], acc9 // copy acc to vreg[17]
v_accvgpr_read_b32 v[vgprValuC+14], acc40 // copy acc to vreg[18]
v_accvgpr_read_b32 v[vgprValuC+15], acc41 // copy acc to vreg[19]
v_accvgpr_read_b32 v[vgprValuC+20], acc10 // copy acc to vreg[20]
v_accvgpr_read_b32 v[vgprValuC+21], acc11 // copy acc to vreg[21]
v_accvgpr_read_b32 v[vgprValuC+22], acc42 // copy acc to vreg[22]
v_accvgpr_read_b32 v[vgprValuC+23], acc43 // copy acc to vreg[23]
v_accvgpr_read_b32 v[vgprValuC+28], acc12 // copy acc to vreg[24]
v_accvgpr_read_b32 v[vgprValuC+29], acc13 // copy acc to vreg[25]
v_accvgpr_read_b32 v[vgprValuC+30], acc44 // copy acc to vreg[26]
v_accvgpr_read_b32 v[vgprValuC+31], acc45 // copy acc to vreg[27]
v_accvgpr_read_b32 v[vgprValuC+36], acc14 // copy acc to vreg[28]
v_accvgpr_read_b32 v[vgprValuC+37], acc15 // copy acc to vreg[29]
v_accvgpr_read_b32 v[vgprValuC+38], acc46 // copy acc to vreg[30]
v_accvgpr_read_b32 v[vgprValuC+39], acc47 // copy acc to vreg[31]
s_nop 1                                            // 2 wait states required before reading vgpr

/* rC *= alpha batchElements=[(0, 4, 0, 0), (0, 5, 0, 0), (0, 6, 0, 0), (0, 7, 0, 0)] */
v_mul_f64 v[40:41], s[sgprAlpha+0:sgprAlpha+0+1], v[vgprValuC+12:vgprValuC+12+1] // 
v_mul_f64 v[42:43], s[sgprAlpha+2:sgprAlpha+2+1], v[vgprValuC+12:vgprValuC+12+1] // 
v_fma_f64 v[vgprValuC+12:vgprValuC+12+1], s[sgprAlpha+2:sgprAlpha+2+1], -v[vgprValuC+14:vgprValuC+14+1], v[40:41]
v_fma_f64 v[vgprValuC+14:vgprValuC+14+1], s[sgprAlpha+0:sgprAlpha+0+1], v[vgprValuC+14:vgprValuC+14+1], v[42:43]
v_mul_f64 v[40:41], s[sgprAlpha+0:sgprAlpha+0+1], v[vgprValuC+20:vgprValuC+20+1] // 
v_mul_f64 v[42:43], s[sgprAlpha+2:sgprAlpha+2+1], v[vgprValuC+20:vgprValuC+20+1] // 
v_fma_f64 v[vgprValuC+20:vgprValuC+20+1], s[sgprAlpha+2:sgprAlpha+2+1], -v[vgprValuC+22:vgprValuC+22+1], v[40:41]
v_fma_f64 v[vgprValuC+22:vgprValuC+22+1], s[sgprAlpha+0:sgprAlpha+0+1], v[vgprValuC+22:vgprValuC+22+1], v[42:43]
	;; [unrolled: 4-line block ×4, first 2 shown]

/* apply mask, calc new C and issue writes */

s_waitcnt vmcnt(3)                                 // wait C (interleaved) 3 = 4 - 0 + 0 - 1
v_fma_f64 v[vgprValuC+12:vgprValuC+12+1], v[8:9], s[sgprBeta+0:sgprBeta+0+1], v[vgprValuC+12:vgprValuC+12+1]
v_fma_f64 v[vgprValuC+12:vgprValuC+12+1], v[10:11], -s[sgprBeta+2:sgprBeta+2+1], v[vgprValuC+12:vgprValuC+12+1]
v_fma_f64 v[vgprValuC+14:vgprValuC+14+1], v[8:9], s[sgprBeta+2:sgprBeta+2+1], v[vgprValuC+14:vgprValuC+14+1]
v_fma_f64 v[vgprValuC+14:vgprValuC+14+1], v[10:11], s[sgprBeta+0:sgprBeta+0+1], v[vgprValuC+14:vgprValuC+14+1]
_buffer_store_b128 v[12:15], v6, s[sgprSrdD:sgprSrdD+3], 0, offen, offset:512 // store D

s_waitcnt vmcnt(3)                                 // wait C (interleaved) 3 = 4 - 1 + 1 - 1
v_fma_f64 v[vgprValuC+20:vgprValuC+20+1], v[16:17], s[sgprBeta+0:sgprBeta+0+1], v[vgprValuC+20:vgprValuC+20+1]
v_fma_f64 v[vgprValuC+20:vgprValuC+20+1], v[18:19], -s[sgprBeta+2:sgprBeta+2+1], v[vgprValuC+20:vgprValuC+20+1]
v_fma_f64 v[vgprValuC+22:vgprValuC+22+1], v[16:17], s[sgprBeta+2:sgprBeta+2+1], v[vgprValuC+22:vgprValuC+22+1]
v_fma_f64 v[vgprValuC+22:vgprValuC+22+1], v[18:19], s[sgprBeta+0:sgprBeta+0+1], v[vgprValuC+22:vgprValuC+22+1]
_buffer_store_b128 v[20:23], v6, s[sgprSrdD:sgprSrdD+3], 0, offen, offset:640 // store D
	;; [unrolled: 7-line block ×4, first 2 shown]
s_nop 0                                            // 1 wait state required when next inst writes vgprs held by previous dwordx4 store inst
/* optSingleColVgpr=1 optSharedColVgpr=0 optSGPRUsage=BufferLoad_Mask optSrdIncForRow=1 */

/******************************************/
/* Global Write Alpha Beta Batch #2 (d1,d0,vc1,vc0) = */
/*    (0,8,0,0:vw1); (0,9,0,0:vw1); (0,10,0,0:vw1); (0,11,0,0:vw1) */
/******************************************/

/* calc coords, apply mask, and issue loads (if necessary) */
/* (d1,vc1,d0,vc0)=(0,0,8,0) */
_buffer_load_b128 v[8:11], v7, s[sgprSrdC:sgprSrdC+3], 0, offen offset:1024 // load C for beta calc
/* (d1,vc1,d0,vc0)=(0,0,9,0) */
_buffer_load_b128 v[16:19], v7, s[sgprSrdC:sgprSrdC+3], 0, offen offset:1152 // load C for beta calc
	;; [unrolled: 2-line block ×4, first 2 shown]
v_accvgpr_read_b32 v[vgprValuC+12], acc16 // copy acc to vreg[32]
v_accvgpr_read_b32 v[vgprValuC+13], acc17 // copy acc to vreg[33]
v_accvgpr_read_b32 v[vgprValuC+14], acc48 // copy acc to vreg[34]
v_accvgpr_read_b32 v[vgprValuC+15], acc49 // copy acc to vreg[35]
v_accvgpr_read_b32 v[vgprValuC+20], acc18 // copy acc to vreg[36]
v_accvgpr_read_b32 v[vgprValuC+21], acc19 // copy acc to vreg[37]
v_accvgpr_read_b32 v[vgprValuC+22], acc50 // copy acc to vreg[38]
v_accvgpr_read_b32 v[vgprValuC+23], acc51 // copy acc to vreg[39]
v_accvgpr_read_b32 v[vgprValuC+28], acc20 // copy acc to vreg[40]
v_accvgpr_read_b32 v[vgprValuC+29], acc21 // copy acc to vreg[41]
v_accvgpr_read_b32 v[vgprValuC+30], acc52 // copy acc to vreg[42]
v_accvgpr_read_b32 v[vgprValuC+31], acc53 // copy acc to vreg[43]
v_accvgpr_read_b32 v[vgprValuC+36], acc22 // copy acc to vreg[44]
v_accvgpr_read_b32 v[vgprValuC+37], acc23 // copy acc to vreg[45]
v_accvgpr_read_b32 v[vgprValuC+38], acc54 // copy acc to vreg[46]
v_accvgpr_read_b32 v[vgprValuC+39], acc55 // copy acc to vreg[47]
s_nop 1                                            // 2 wait states required before reading vgpr

/* rC *= alpha batchElements=[(0, 8, 0, 0), (0, 9, 0, 0), (0, 10, 0, 0), (0, 11, 0, 0)] */
v_mul_f64 v[40:41], s[sgprAlpha+0:sgprAlpha+0+1], v[vgprValuC+12:vgprValuC+12+1] // 
v_mul_f64 v[42:43], s[sgprAlpha+2:sgprAlpha+2+1], v[vgprValuC+12:vgprValuC+12+1] // 
v_fma_f64 v[vgprValuC+12:vgprValuC+12+1], s[sgprAlpha+2:sgprAlpha+2+1], -v[vgprValuC+14:vgprValuC+14+1], v[40:41]
v_fma_f64 v[vgprValuC+14:vgprValuC+14+1], s[sgprAlpha+0:sgprAlpha+0+1], v[vgprValuC+14:vgprValuC+14+1], v[42:43]
v_mul_f64 v[40:41], s[sgprAlpha+0:sgprAlpha+0+1], v[vgprValuC+20:vgprValuC+20+1] // 
v_mul_f64 v[42:43], s[sgprAlpha+2:sgprAlpha+2+1], v[vgprValuC+20:vgprValuC+20+1] // 
v_fma_f64 v[vgprValuC+20:vgprValuC+20+1], s[sgprAlpha+2:sgprAlpha+2+1], -v[vgprValuC+22:vgprValuC+22+1], v[40:41]
v_fma_f64 v[vgprValuC+22:vgprValuC+22+1], s[sgprAlpha+0:sgprAlpha+0+1], v[vgprValuC+22:vgprValuC+22+1], v[42:43]
	;; [unrolled: 4-line block ×4, first 2 shown]

/* apply mask, calc new C and issue writes */

s_waitcnt vmcnt(3)                                 // wait C (interleaved) 3 = 4 - 0 + 0 - 1
v_fma_f64 v[vgprValuC+12:vgprValuC+12+1], v[8:9], s[sgprBeta+0:sgprBeta+0+1], v[vgprValuC+12:vgprValuC+12+1]
v_fma_f64 v[vgprValuC+12:vgprValuC+12+1], v[10:11], -s[sgprBeta+2:sgprBeta+2+1], v[vgprValuC+12:vgprValuC+12+1]
v_fma_f64 v[vgprValuC+14:vgprValuC+14+1], v[8:9], s[sgprBeta+2:sgprBeta+2+1], v[vgprValuC+14:vgprValuC+14+1]
v_fma_f64 v[vgprValuC+14:vgprValuC+14+1], v[10:11], s[sgprBeta+0:sgprBeta+0+1], v[vgprValuC+14:vgprValuC+14+1]
_buffer_store_b128 v[12:15], v6, s[sgprSrdD:sgprSrdD+3], 0, offen, offset:1024 // store D

s_waitcnt vmcnt(3)                                 // wait C (interleaved) 3 = 4 - 1 + 1 - 1
v_fma_f64 v[vgprValuC+20:vgprValuC+20+1], v[16:17], s[sgprBeta+0:sgprBeta+0+1], v[vgprValuC+20:vgprValuC+20+1]
v_fma_f64 v[vgprValuC+20:vgprValuC+20+1], v[18:19], -s[sgprBeta+2:sgprBeta+2+1], v[vgprValuC+20:vgprValuC+20+1]
v_fma_f64 v[vgprValuC+22:vgprValuC+22+1], v[16:17], s[sgprBeta+2:sgprBeta+2+1], v[vgprValuC+22:vgprValuC+22+1]
v_fma_f64 v[vgprValuC+22:vgprValuC+22+1], v[18:19], s[sgprBeta+0:sgprBeta+0+1], v[vgprValuC+22:vgprValuC+22+1]
_buffer_store_b128 v[20:23], v6, s[sgprSrdD:sgprSrdD+3], 0, offen, offset:1152 // store D
	;; [unrolled: 7-line block ×4, first 2 shown]
s_nop 0                                            // 1 wait state required when next inst writes vgprs held by previous dwordx4 store inst
/* optSingleColVgpr=1 optSharedColVgpr=0 optSGPRUsage=BufferLoad_Mask optSrdIncForRow=1 */

/******************************************/
/* Global Write Alpha Beta Batch #3 (d1,d0,vc1,vc0) = */
/*    (0,12,0,0:vw1); (0,13,0,0:vw1); (0,14,0,0:vw1); (0,15,0,0:vw1) */
/******************************************/

/* calc coords, apply mask, and issue loads (if necessary) */
/* (d1,vc1,d0,vc0)=(0,0,12,0) */
_buffer_load_b128 v[8:11], v7, s[sgprSrdC:sgprSrdC+3], 0, offen offset:1536 // load C for beta calc
/* (d1,vc1,d0,vc0)=(0,0,13,0) */
_buffer_load_b128 v[16:19], v7, s[sgprSrdC:sgprSrdC+3], 0, offen offset:1664 // load C for beta calc
	;; [unrolled: 2-line block ×4, first 2 shown]
v_accvgpr_read_b32 v[vgprValuC+12], acc24 // copy acc to vreg[48]
v_accvgpr_read_b32 v[vgprValuC+13], acc25 // copy acc to vreg[49]
v_accvgpr_read_b32 v[vgprValuC+14], acc56 // copy acc to vreg[50]
v_accvgpr_read_b32 v[vgprValuC+15], acc57 // copy acc to vreg[51]
v_accvgpr_read_b32 v[vgprValuC+20], acc26 // copy acc to vreg[52]
v_accvgpr_read_b32 v[vgprValuC+21], acc27 // copy acc to vreg[53]
v_accvgpr_read_b32 v[vgprValuC+22], acc58 // copy acc to vreg[54]
v_accvgpr_read_b32 v[vgprValuC+23], acc59 // copy acc to vreg[55]
v_accvgpr_read_b32 v[vgprValuC+28], acc28 // copy acc to vreg[56]
v_accvgpr_read_b32 v[vgprValuC+29], acc29 // copy acc to vreg[57]
v_accvgpr_read_b32 v[vgprValuC+30], acc60 // copy acc to vreg[58]
v_accvgpr_read_b32 v[vgprValuC+31], acc61 // copy acc to vreg[59]
v_accvgpr_read_b32 v[vgprValuC+36], acc30 // copy acc to vreg[60]
v_accvgpr_read_b32 v[vgprValuC+37], acc31 // copy acc to vreg[61]
v_accvgpr_read_b32 v[vgprValuC+38], acc62 // copy acc to vreg[62]
v_accvgpr_read_b32 v[vgprValuC+39], acc63 // copy acc to vreg[63]
s_nop 1                                            // 2 wait states required before reading vgpr

/* rC *= alpha batchElements=[(0, 12, 0, 0), (0, 13, 0, 0), (0, 14, 0, 0), (0, 15, 0, 0)] */
v_mul_f64 v[40:41], s[sgprAlpha+0:sgprAlpha+0+1], v[vgprValuC+12:vgprValuC+12+1] // 
v_mul_f64 v[42:43], s[sgprAlpha+2:sgprAlpha+2+1], v[vgprValuC+12:vgprValuC+12+1] // 
v_fma_f64 v[vgprValuC+12:vgprValuC+12+1], s[sgprAlpha+2:sgprAlpha+2+1], -v[vgprValuC+14:vgprValuC+14+1], v[40:41]
v_fma_f64 v[vgprValuC+14:vgprValuC+14+1], s[sgprAlpha+0:sgprAlpha+0+1], v[vgprValuC+14:vgprValuC+14+1], v[42:43]
v_mul_f64 v[40:41], s[sgprAlpha+0:sgprAlpha+0+1], v[vgprValuC+20:vgprValuC+20+1] // 
v_mul_f64 v[42:43], s[sgprAlpha+2:sgprAlpha+2+1], v[vgprValuC+20:vgprValuC+20+1] // 
v_fma_f64 v[vgprValuC+20:vgprValuC+20+1], s[sgprAlpha+2:sgprAlpha+2+1], -v[vgprValuC+22:vgprValuC+22+1], v[40:41]
v_fma_f64 v[vgprValuC+22:vgprValuC+22+1], s[sgprAlpha+0:sgprAlpha+0+1], v[vgprValuC+22:vgprValuC+22+1], v[42:43]
	;; [unrolled: 4-line block ×4, first 2 shown]

/* apply mask, calc new C and issue writes */

s_waitcnt vmcnt(3)                                 // wait C (interleaved) 3 = 4 - 0 + 0 - 1
v_fma_f64 v[vgprValuC+12:vgprValuC+12+1], v[8:9], s[sgprBeta+0:sgprBeta+0+1], v[vgprValuC+12:vgprValuC+12+1]
v_fma_f64 v[vgprValuC+12:vgprValuC+12+1], v[10:11], -s[sgprBeta+2:sgprBeta+2+1], v[vgprValuC+12:vgprValuC+12+1]
v_fma_f64 v[vgprValuC+14:vgprValuC+14+1], v[8:9], s[sgprBeta+2:sgprBeta+2+1], v[vgprValuC+14:vgprValuC+14+1]
v_fma_f64 v[vgprValuC+14:vgprValuC+14+1], v[10:11], s[sgprBeta+0:sgprBeta+0+1], v[vgprValuC+14:vgprValuC+14+1]
_buffer_store_b128 v[12:15], v6, s[sgprSrdD:sgprSrdD+3], 0, offen, offset:1536 // store D

s_waitcnt vmcnt(3)                                 // wait C (interleaved) 3 = 4 - 1 + 1 - 1
v_fma_f64 v[vgprValuC+20:vgprValuC+20+1], v[16:17], s[sgprBeta+0:sgprBeta+0+1], v[vgprValuC+20:vgprValuC+20+1]
v_fma_f64 v[vgprValuC+20:vgprValuC+20+1], v[18:19], -s[sgprBeta+2:sgprBeta+2+1], v[vgprValuC+20:vgprValuC+20+1]
v_fma_f64 v[vgprValuC+22:vgprValuC+22+1], v[16:17], s[sgprBeta+2:sgprBeta+2+1], v[vgprValuC+22:vgprValuC+22+1]
v_fma_f64 v[vgprValuC+22:vgprValuC+22+1], v[18:19], s[sgprBeta+0:sgprBeta+0+1], v[vgprValuC+22:vgprValuC+22+1]
_buffer_store_b128 v[20:23], v6, s[sgprSrdD:sgprSrdD+3], 0, offen, offset:1664 // store D
	;; [unrolled: 7-line block ×4, first 2 shown]
s_nop 0                                            // 1 wait state required when next inst writes vgprs held by previous dwordx4 store inst
s_branch label_GW_End_48                           // jump to end
GW_B1_E1_47:

/* edge=1, allocate 6 sgpr. perBatchTmpS=4 perBatchMaskS=2 perElementMaskS=0 elementsPerBatch=4 */
/* optSingleColVgpr=0 optSharedColVgpr=0 optSGPRUsage=BufferLoad_Edge_Mask optSrdIncForRow=0 */

/******************************************/
/* Global Write Alpha Beta Edge Batch #0 (d1,d0,vc1,vc0) = */
/*    (0,0,0,0:vw1); (0,1,0,0:vw1); (0,2,0,0:vw1); (0,3,0,0:vw1) */
/******************************************/

/* calc coords, apply mask, and issue loads (if necessary) */
/* (d1,vc1,d0,vc0)=(0,0,0,0) */
v_cmp_lt_u32 s[58:59], v0, s[sgprSizeI]            // coord0 < size0
v_cmp_lt_u32 s[62:63], v1, s[sgprSizeJ]            // coord1 < size1
s_and_b64 s[62:63], s[58:59], s[62:63]             // in0 && in1
_v_add_lshl_u32 v6, v2, v0, 0x4                    // scaleToBpe: accumulate d0 lower and *= bpe into Cin addr
v_cndmask_b32 v6, -1, v6, s[62:63]                 // LDC clip if OOB. offset
_buffer_load_b128 v[8:11], v6, s[sgprSrdC:sgprSrdC+3], 0, offen offset:0 // load C for beta calc
_v_add_lshl_u32 v6, v3, v0, 0x4                    // scaleToBpe: accumulate d0 lower and *= bpe into Cin addr
v_cndmask_b32 v6, -1, v6, s[62:63]                 // LDD clip if OOB. offset
/* (d1,vc1,d0,vc0)=(0,0,1,0) */
_v_add_co_u32 v4, vcc, v0, 8                       // coord0.1: coord0 += d0*sg0*VW + vc0
v_cmp_lt_u32 s[58:59], v4, s[sgprSizeI]            // coord0 < size0
v_cmp_lt_u32 s[62:63], v1, s[sgprSizeJ]            // coord1 < size1
s_and_b64 s[62:63], s[58:59], s[62:63]             // in0 && in1
_v_add_lshl_u32 v7, v2, v4, 0x4                    // scaleToBpe: accumulate d0 lower and *= bpe into Cin addr
v_cndmask_b32 v7, -1, v7, s[62:63]                 // LDC clip if OOB. offset
_buffer_load_b128 v[16:19], v7, s[sgprSrdC:sgprSrdC+3], 0, offen offset:0 // load C for beta calc
_v_add_lshl_u32 v7, v3, v4, 0x4                    // scaleToBpe: accumulate d0 lower and *= bpe into Cin addr
v_cndmask_b32 v7, -1, v7, s[62:63]                 // LDD clip if OOB. offset
/* (d1,vc1,d0,vc0)=(0,0,2,0) */
_v_add_co_u32 v4, vcc, v0, 16                      // coord0.1: coord0 += d0*sg0*VW + vc0
v_cmp_lt_u32 s[58:59], v4, s[sgprSizeI]            // coord0 < size0
v_cmp_lt_u32 s[62:63], v1, s[sgprSizeJ]            // coord1 < size1
s_and_b64 s[62:63], s[58:59], s[62:63]             // in0 && in1
_v_add_lshl_u32 v24, v2, v4, 0x4                   // scaleToBpe: accumulate d0 lower and *= bpe into Cin addr
v_cndmask_b32 v24, -1, v24, s[62:63]               // LDC clip if OOB. offset
_buffer_load_b128 v[28:31], v24, s[sgprSrdC:sgprSrdC+3], 0, offen offset:0 // load C for beta calc
_v_add_lshl_u32 v24, v3, v4, 0x4                   // scaleToBpe: accumulate d0 lower and *= bpe into Cin addr
v_cndmask_b32 v24, -1, v24, s[62:63]               // LDD clip if OOB. offset
/* (d1,vc1,d0,vc0)=(0,0,3,0) */
_v_add_co_u32 v4, vcc, v0, 24                      // coord0.1: coord0 += d0*sg0*VW + vc0
v_cmp_lt_u32 s[58:59], v4, s[sgprSizeI]            // coord0 < size0
v_cmp_lt_u32 s[62:63], v1, s[sgprSizeJ]            // coord1 < size1
s_and_b64 s[62:63], s[58:59], s[62:63]             // in0 && in1
_v_add_lshl_u32 v25, v2, v4, 0x4                   // scaleToBpe: accumulate d0 lower and *= bpe into Cin addr
v_cndmask_b32 v25, -1, v25, s[62:63]               // LDC clip if OOB. offset
_buffer_load_b128 v[36:39], v25, s[sgprSrdC:sgprSrdC+3], 0, offen offset:0 // load C for beta calc
_v_add_lshl_u32 v25, v3, v4, 0x4                   // scaleToBpe: accumulate d0 lower and *= bpe into Cin addr
v_cndmask_b32 v25, -1, v25, s[62:63]               // LDD clip if OOB. offset
v_accvgpr_read_b32 v[vgprValuC+12], acc0 // copy acc to vreg[0]
v_accvgpr_read_b32 v[vgprValuC+13], acc1 // copy acc to vreg[1]
v_accvgpr_read_b32 v[vgprValuC+14], acc32 // copy acc to vreg[2]
v_accvgpr_read_b32 v[vgprValuC+15], acc33 // copy acc to vreg[3]
v_accvgpr_read_b32 v[vgprValuC+20], acc2 // copy acc to vreg[4]
v_accvgpr_read_b32 v[vgprValuC+21], acc3 // copy acc to vreg[5]
v_accvgpr_read_b32 v[vgprValuC+22], acc34 // copy acc to vreg[6]
v_accvgpr_read_b32 v[vgprValuC+23], acc35 // copy acc to vreg[7]
v_accvgpr_read_b32 v[vgprValuC+32], acc4 // copy acc to vreg[8]
v_accvgpr_read_b32 v[vgprValuC+33], acc5 // copy acc to vreg[9]
v_accvgpr_read_b32 v[vgprValuC+34], acc36 // copy acc to vreg[10]
v_accvgpr_read_b32 v[vgprValuC+35], acc37 // copy acc to vreg[11]
v_accvgpr_read_b32 v[vgprValuC+40], acc6 // copy acc to vreg[12]
v_accvgpr_read_b32 v[vgprValuC+41], acc7 // copy acc to vreg[13]
v_accvgpr_read_b32 v[vgprValuC+42], acc38 // copy acc to vreg[14]
v_accvgpr_read_b32 v[vgprValuC+43], acc39 // copy acc to vreg[15]
s_nop 1                                            // 2 wait states required before reading vgpr

/* rC *= alpha batchElements=[(0, 0, 0, 0), (0, 1, 0, 0), (0, 2, 0, 0), (0, 3, 0, 0)] */
v_mul_f64 v[26:27], s[sgprAlpha+0:sgprAlpha+0+1], v[vgprValuC+12:vgprValuC+12+1] // 
v_mul_f64 v[44:45], s[sgprAlpha+2:sgprAlpha+2+1], v[vgprValuC+12:vgprValuC+12+1] // 
v_fma_f64 v[vgprValuC+12:vgprValuC+12+1], s[sgprAlpha+2:sgprAlpha+2+1], -v[vgprValuC+14:vgprValuC+14+1], v[26:27]
v_fma_f64 v[vgprValuC+14:vgprValuC+14+1], s[sgprAlpha+0:sgprAlpha+0+1], v[vgprValuC+14:vgprValuC+14+1], v[44:45]
v_mul_f64 v[26:27], s[sgprAlpha+0:sgprAlpha+0+1], v[vgprValuC+20:vgprValuC+20+1] // 
v_mul_f64 v[44:45], s[sgprAlpha+2:sgprAlpha+2+1], v[vgprValuC+20:vgprValuC+20+1] // 
v_fma_f64 v[vgprValuC+20:vgprValuC+20+1], s[sgprAlpha+2:sgprAlpha+2+1], -v[vgprValuC+22:vgprValuC+22+1], v[26:27]
v_fma_f64 v[vgprValuC+22:vgprValuC+22+1], s[sgprAlpha+0:sgprAlpha+0+1], v[vgprValuC+22:vgprValuC+22+1], v[44:45]
	;; [unrolled: 4-line block ×4, first 2 shown]
s_waitcnt vmcnt(0)                                 // wait C

/* apply mask, calc new C and issue writes */
v_fma_f64 v[vgprValuC+12:vgprValuC+12+1], v[8:9], s[sgprBeta+0:sgprBeta+0+1], v[vgprValuC+12:vgprValuC+12+1]
v_fma_f64 v[vgprValuC+12:vgprValuC+12+1], v[10:11], -s[sgprBeta+2:sgprBeta+2+1], v[vgprValuC+12:vgprValuC+12+1]
v_fma_f64 v[vgprValuC+14:vgprValuC+14+1], v[8:9], s[sgprBeta+2:sgprBeta+2+1], v[vgprValuC+14:vgprValuC+14+1]
v_fma_f64 v[vgprValuC+14:vgprValuC+14+1], v[10:11], s[sgprBeta+0:sgprBeta+0+1], v[vgprValuC+14:vgprValuC+14+1]
_buffer_store_b128 v[12:15], v6, s[sgprSrdD:sgprSrdD+3], 0, offen, offset:0 // store D
v_fma_f64 v[vgprValuC+20:vgprValuC+20+1], v[16:17], s[sgprBeta+0:sgprBeta+0+1], v[vgprValuC+20:vgprValuC+20+1]
v_fma_f64 v[vgprValuC+20:vgprValuC+20+1], v[18:19], -s[sgprBeta+2:sgprBeta+2+1], v[vgprValuC+20:vgprValuC+20+1]
v_fma_f64 v[vgprValuC+22:vgprValuC+22+1], v[16:17], s[sgprBeta+2:sgprBeta+2+1], v[vgprValuC+22:vgprValuC+22+1]
v_fma_f64 v[vgprValuC+22:vgprValuC+22+1], v[18:19], s[sgprBeta+0:sgprBeta+0+1], v[vgprValuC+22:vgprValuC+22+1]
_buffer_store_b128 v[20:23], v7, s[sgprSrdD:sgprSrdD+3], 0, offen, offset:0 // store D
	;; [unrolled: 5-line block ×4, first 2 shown]
s_nop 0                                            // 1 wait state required when next inst writes vgprs held by previous dwordx4 store inst
/* optSingleColVgpr=0 optSharedColVgpr=0 optSGPRUsage=BufferLoad_Edge_Mask optSrdIncForRow=0 */

/******************************************/
/* Global Write Alpha Beta Edge Batch #1 (d1,d0,vc1,vc0) = */
/*    (0,4,0,0:vw1); (0,5,0,0:vw1); (0,6,0,0:vw1); (0,7,0,0:vw1) */
/******************************************/

/* calc coords, apply mask, and issue loads (if necessary) */
/* (d1,vc1,d0,vc0)=(0,0,4,0) */
_v_add_co_u32 v4, vcc, v0, 32                      // coord0.1: coord0 += d0*sg0*VW + vc0
v_cmp_lt_u32 s[58:59], v4, s[sgprSizeI]            // coord0 < size0
v_cmp_lt_u32 s[62:63], v1, s[sgprSizeJ]            // coord1 < size1
s_and_b64 s[62:63], s[58:59], s[62:63]             // in0 && in1
_v_add_lshl_u32 v6, v2, v4, 0x4                    // scaleToBpe: accumulate d0 lower and *= bpe into Cin addr
v_cndmask_b32 v6, -1, v6, s[62:63]                 // LDC clip if OOB. offset
_buffer_load_b128 v[8:11], v6, s[sgprSrdC:sgprSrdC+3], 0, offen offset:0 // load C for beta calc
_v_add_lshl_u32 v6, v3, v4, 0x4                    // scaleToBpe: accumulate d0 lower and *= bpe into Cin addr
v_cndmask_b32 v6, -1, v6, s[62:63]                 // LDD clip if OOB. offset
/* (d1,vc1,d0,vc0)=(0,0,5,0) */
_v_add_co_u32 v4, vcc, v0, 40                      // coord0.1: coord0 += d0*sg0*VW + vc0
v_cmp_lt_u32 s[58:59], v4, s[sgprSizeI]            // coord0 < size0
v_cmp_lt_u32 s[62:63], v1, s[sgprSizeJ]            // coord1 < size1
s_and_b64 s[62:63], s[58:59], s[62:63]             // in0 && in1
_v_add_lshl_u32 v7, v2, v4, 0x4                    // scaleToBpe: accumulate d0 lower and *= bpe into Cin addr
v_cndmask_b32 v7, -1, v7, s[62:63]                 // LDC clip if OOB. offset
_buffer_load_b128 v[16:19], v7, s[sgprSrdC:sgprSrdC+3], 0, offen offset:0 // load C for beta calc
_v_add_lshl_u32 v7, v3, v4, 0x4                    // scaleToBpe: accumulate d0 lower and *= bpe into Cin addr
v_cndmask_b32 v7, -1, v7, s[62:63]                 // LDD clip if OOB. offset
/* (d1,vc1,d0,vc0)=(0,0,6,0) */
_v_add_co_u32 v4, vcc, v0, 48                      // coord0.1: coord0 += d0*sg0*VW + vc0
v_cmp_lt_u32 s[58:59], v4, s[sgprSizeI]            // coord0 < size0
v_cmp_lt_u32 s[62:63], v1, s[sgprSizeJ]            // coord1 < size1
s_and_b64 s[62:63], s[58:59], s[62:63]             // in0 && in1
_v_add_lshl_u32 v24, v2, v4, 0x4                   // scaleToBpe: accumulate d0 lower and *= bpe into Cin addr
v_cndmask_b32 v24, -1, v24, s[62:63]               // LDC clip if OOB. offset
_buffer_load_b128 v[28:31], v24, s[sgprSrdC:sgprSrdC+3], 0, offen offset:0 // load C for beta calc
_v_add_lshl_u32 v24, v3, v4, 0x4                   // scaleToBpe: accumulate d0 lower and *= bpe into Cin addr
v_cndmask_b32 v24, -1, v24, s[62:63]               // LDD clip if OOB. offset
/* (d1,vc1,d0,vc0)=(0,0,7,0) */
_v_add_co_u32 v4, vcc, v0, 56                      // coord0.1: coord0 += d0*sg0*VW + vc0
v_cmp_lt_u32 s[58:59], v4, s[sgprSizeI]            // coord0 < size0
v_cmp_lt_u32 s[62:63], v1, s[sgprSizeJ]            // coord1 < size1
s_and_b64 s[62:63], s[58:59], s[62:63]             // in0 && in1
_v_add_lshl_u32 v25, v2, v4, 0x4                   // scaleToBpe: accumulate d0 lower and *= bpe into Cin addr
v_cndmask_b32 v25, -1, v25, s[62:63]               // LDC clip if OOB. offset
_buffer_load_b128 v[36:39], v25, s[sgprSrdC:sgprSrdC+3], 0, offen offset:0 // load C for beta calc
_v_add_lshl_u32 v25, v3, v4, 0x4                   // scaleToBpe: accumulate d0 lower and *= bpe into Cin addr
v_cndmask_b32 v25, -1, v25, s[62:63]               // LDD clip if OOB. offset
v_accvgpr_read_b32 v[vgprValuC+12], acc8 // copy acc to vreg[16]
v_accvgpr_read_b32 v[vgprValuC+13], acc9 // copy acc to vreg[17]
v_accvgpr_read_b32 v[vgprValuC+14], acc40 // copy acc to vreg[18]
v_accvgpr_read_b32 v[vgprValuC+15], acc41 // copy acc to vreg[19]
v_accvgpr_read_b32 v[vgprValuC+20], acc10 // copy acc to vreg[20]
v_accvgpr_read_b32 v[vgprValuC+21], acc11 // copy acc to vreg[21]
v_accvgpr_read_b32 v[vgprValuC+22], acc42 // copy acc to vreg[22]
v_accvgpr_read_b32 v[vgprValuC+23], acc43 // copy acc to vreg[23]
v_accvgpr_read_b32 v[vgprValuC+32], acc12 // copy acc to vreg[24]
v_accvgpr_read_b32 v[vgprValuC+33], acc13 // copy acc to vreg[25]
v_accvgpr_read_b32 v[vgprValuC+34], acc44 // copy acc to vreg[26]
v_accvgpr_read_b32 v[vgprValuC+35], acc45 // copy acc to vreg[27]
v_accvgpr_read_b32 v[vgprValuC+40], acc14 // copy acc to vreg[28]
v_accvgpr_read_b32 v[vgprValuC+41], acc15 // copy acc to vreg[29]
v_accvgpr_read_b32 v[vgprValuC+42], acc46 // copy acc to vreg[30]
v_accvgpr_read_b32 v[vgprValuC+43], acc47 // copy acc to vreg[31]
s_nop 1                                            // 2 wait states required before reading vgpr

/* rC *= alpha batchElements=[(0, 4, 0, 0), (0, 5, 0, 0), (0, 6, 0, 0), (0, 7, 0, 0)] */
v_mul_f64 v[26:27], s[sgprAlpha+0:sgprAlpha+0+1], v[vgprValuC+12:vgprValuC+12+1] // 
v_mul_f64 v[44:45], s[sgprAlpha+2:sgprAlpha+2+1], v[vgprValuC+12:vgprValuC+12+1] // 
v_fma_f64 v[vgprValuC+12:vgprValuC+12+1], s[sgprAlpha+2:sgprAlpha+2+1], -v[vgprValuC+14:vgprValuC+14+1], v[26:27]
v_fma_f64 v[vgprValuC+14:vgprValuC+14+1], s[sgprAlpha+0:sgprAlpha+0+1], v[vgprValuC+14:vgprValuC+14+1], v[44:45]
v_mul_f64 v[26:27], s[sgprAlpha+0:sgprAlpha+0+1], v[vgprValuC+20:vgprValuC+20+1] // 
v_mul_f64 v[44:45], s[sgprAlpha+2:sgprAlpha+2+1], v[vgprValuC+20:vgprValuC+20+1] // 
v_fma_f64 v[vgprValuC+20:vgprValuC+20+1], s[sgprAlpha+2:sgprAlpha+2+1], -v[vgprValuC+22:vgprValuC+22+1], v[26:27]
v_fma_f64 v[vgprValuC+22:vgprValuC+22+1], s[sgprAlpha+0:sgprAlpha+0+1], v[vgprValuC+22:vgprValuC+22+1], v[44:45]
	;; [unrolled: 4-line block ×4, first 2 shown]
s_waitcnt vmcnt(0)                                 // wait C

/* apply mask, calc new C and issue writes */
v_fma_f64 v[vgprValuC+12:vgprValuC+12+1], v[8:9], s[sgprBeta+0:sgprBeta+0+1], v[vgprValuC+12:vgprValuC+12+1]
v_fma_f64 v[vgprValuC+12:vgprValuC+12+1], v[10:11], -s[sgprBeta+2:sgprBeta+2+1], v[vgprValuC+12:vgprValuC+12+1]
v_fma_f64 v[vgprValuC+14:vgprValuC+14+1], v[8:9], s[sgprBeta+2:sgprBeta+2+1], v[vgprValuC+14:vgprValuC+14+1]
v_fma_f64 v[vgprValuC+14:vgprValuC+14+1], v[10:11], s[sgprBeta+0:sgprBeta+0+1], v[vgprValuC+14:vgprValuC+14+1]
_buffer_store_b128 v[12:15], v6, s[sgprSrdD:sgprSrdD+3], 0, offen, offset:0 // store D
v_fma_f64 v[vgprValuC+20:vgprValuC+20+1], v[16:17], s[sgprBeta+0:sgprBeta+0+1], v[vgprValuC+20:vgprValuC+20+1]
v_fma_f64 v[vgprValuC+20:vgprValuC+20+1], v[18:19], -s[sgprBeta+2:sgprBeta+2+1], v[vgprValuC+20:vgprValuC+20+1]
v_fma_f64 v[vgprValuC+22:vgprValuC+22+1], v[16:17], s[sgprBeta+2:sgprBeta+2+1], v[vgprValuC+22:vgprValuC+22+1]
v_fma_f64 v[vgprValuC+22:vgprValuC+22+1], v[18:19], s[sgprBeta+0:sgprBeta+0+1], v[vgprValuC+22:vgprValuC+22+1]
_buffer_store_b128 v[20:23], v7, s[sgprSrdD:sgprSrdD+3], 0, offen, offset:0 // store D
	;; [unrolled: 5-line block ×4, first 2 shown]
s_nop 0                                            // 1 wait state required when next inst writes vgprs held by previous dwordx4 store inst
/* optSingleColVgpr=0 optSharedColVgpr=0 optSGPRUsage=BufferLoad_Edge_Mask optSrdIncForRow=0 */

/******************************************/
/* Global Write Alpha Beta Edge Batch #2 (d1,d0,vc1,vc0) = */
/*    (0,8,0,0:vw1); (0,9,0,0:vw1); (0,10,0,0:vw1); (0,11,0,0:vw1) */
/******************************************/

/* calc coords, apply mask, and issue loads (if necessary) */
/* (d1,vc1,d0,vc0)=(0,0,8,0) */
_v_add_co_u32 v4, vcc, v0, 64                      // coord0.1: coord0 += d0*sg0*VW + vc0
v_cmp_lt_u32 s[58:59], v4, s[sgprSizeI]            // coord0 < size0
v_cmp_lt_u32 s[62:63], v1, s[sgprSizeJ]            // coord1 < size1
s_and_b64 s[62:63], s[58:59], s[62:63]             // in0 && in1
_v_add_lshl_u32 v6, v2, v4, 0x4                    // scaleToBpe: accumulate d0 lower and *= bpe into Cin addr
v_cndmask_b32 v6, -1, v6, s[62:63]                 // LDC clip if OOB. offset
_buffer_load_b128 v[8:11], v6, s[sgprSrdC:sgprSrdC+3], 0, offen offset:0 // load C for beta calc
_v_add_lshl_u32 v6, v3, v4, 0x4                    // scaleToBpe: accumulate d0 lower and *= bpe into Cin addr
v_cndmask_b32 v6, -1, v6, s[62:63]                 // LDD clip if OOB. offset
/* (d1,vc1,d0,vc0)=(0,0,9,0) */
s_mov_b32 s58, 72                                  // coordOffset0 d0=9 vc0=0
_v_add_co_u32 v4, vcc, v0, s58                     // coord0.2: coord0 += d0*sg0*VW + vc0
v_cmp_lt_u32 s[58:59], v4, s[sgprSizeI]            // coord0 < size0
v_cmp_lt_u32 s[62:63], v1, s[sgprSizeJ]            // coord1 < size1
s_and_b64 s[62:63], s[58:59], s[62:63]             // in0 && in1
_v_add_lshl_u32 v7, v2, v4, 0x4                    // scaleToBpe: accumulate d0 lower and *= bpe into Cin addr
v_cndmask_b32 v7, -1, v7, s[62:63]                 // LDC clip if OOB. offset
_buffer_load_b128 v[16:19], v7, s[sgprSrdC:sgprSrdC+3], 0, offen offset:0 // load C for beta calc
_v_add_lshl_u32 v7, v3, v4, 0x4                    // scaleToBpe: accumulate d0 lower and *= bpe into Cin addr
v_cndmask_b32 v7, -1, v7, s[62:63]                 // LDD clip if OOB. offset
/* (d1,vc1,d0,vc0)=(0,0,10,0) */
s_mov_b32 s58, 80                                  // coordOffset0 d0=10 vc0=0
_v_add_co_u32 v4, vcc, v0, s58                     // coord0.2: coord0 += d0*sg0*VW + vc0
v_cmp_lt_u32 s[58:59], v4, s[sgprSizeI]            // coord0 < size0
v_cmp_lt_u32 s[62:63], v1, s[sgprSizeJ]            // coord1 < size1
s_and_b64 s[62:63], s[58:59], s[62:63]             // in0 && in1
_v_add_lshl_u32 v24, v2, v4, 0x4                   // scaleToBpe: accumulate d0 lower and *= bpe into Cin addr
v_cndmask_b32 v24, -1, v24, s[62:63]               // LDC clip if OOB. offset
_buffer_load_b128 v[28:31], v24, s[sgprSrdC:sgprSrdC+3], 0, offen offset:0 // load C for beta calc
_v_add_lshl_u32 v24, v3, v4, 0x4                   // scaleToBpe: accumulate d0 lower and *= bpe into Cin addr
v_cndmask_b32 v24, -1, v24, s[62:63]               // LDD clip if OOB. offset
/* (d1,vc1,d0,vc0)=(0,0,11,0) */
s_mov_b32 s58, 88                                  // coordOffset0 d0=11 vc0=0
_v_add_co_u32 v4, vcc, v0, s58                     // coord0.2: coord0 += d0*sg0*VW + vc0
v_cmp_lt_u32 s[58:59], v4, s[sgprSizeI]            // coord0 < size0
v_cmp_lt_u32 s[62:63], v1, s[sgprSizeJ]            // coord1 < size1
s_and_b64 s[62:63], s[58:59], s[62:63]             // in0 && in1
_v_add_lshl_u32 v25, v2, v4, 0x4                   // scaleToBpe: accumulate d0 lower and *= bpe into Cin addr
v_cndmask_b32 v25, -1, v25, s[62:63]               // LDC clip if OOB. offset
_buffer_load_b128 v[36:39], v25, s[sgprSrdC:sgprSrdC+3], 0, offen offset:0 // load C for beta calc
_v_add_lshl_u32 v25, v3, v4, 0x4                   // scaleToBpe: accumulate d0 lower and *= bpe into Cin addr
v_cndmask_b32 v25, -1, v25, s[62:63]               // LDD clip if OOB. offset
v_accvgpr_read_b32 v[vgprValuC+12], acc16 // copy acc to vreg[32]
v_accvgpr_read_b32 v[vgprValuC+13], acc17 // copy acc to vreg[33]
v_accvgpr_read_b32 v[vgprValuC+14], acc48 // copy acc to vreg[34]
v_accvgpr_read_b32 v[vgprValuC+15], acc49 // copy acc to vreg[35]
v_accvgpr_read_b32 v[vgprValuC+20], acc18 // copy acc to vreg[36]
v_accvgpr_read_b32 v[vgprValuC+21], acc19 // copy acc to vreg[37]
v_accvgpr_read_b32 v[vgprValuC+22], acc50 // copy acc to vreg[38]
v_accvgpr_read_b32 v[vgprValuC+23], acc51 // copy acc to vreg[39]
v_accvgpr_read_b32 v[vgprValuC+32], acc20 // copy acc to vreg[40]
v_accvgpr_read_b32 v[vgprValuC+33], acc21 // copy acc to vreg[41]
v_accvgpr_read_b32 v[vgprValuC+34], acc52 // copy acc to vreg[42]
v_accvgpr_read_b32 v[vgprValuC+35], acc53 // copy acc to vreg[43]
v_accvgpr_read_b32 v[vgprValuC+40], acc22 // copy acc to vreg[44]
v_accvgpr_read_b32 v[vgprValuC+41], acc23 // copy acc to vreg[45]
v_accvgpr_read_b32 v[vgprValuC+42], acc54 // copy acc to vreg[46]
v_accvgpr_read_b32 v[vgprValuC+43], acc55 // copy acc to vreg[47]
s_nop 1                                            // 2 wait states required before reading vgpr

/* rC *= alpha batchElements=[(0, 8, 0, 0), (0, 9, 0, 0), (0, 10, 0, 0), (0, 11, 0, 0)] */
v_mul_f64 v[26:27], s[sgprAlpha+0:sgprAlpha+0+1], v[vgprValuC+12:vgprValuC+12+1] // 
v_mul_f64 v[44:45], s[sgprAlpha+2:sgprAlpha+2+1], v[vgprValuC+12:vgprValuC+12+1] // 
v_fma_f64 v[vgprValuC+12:vgprValuC+12+1], s[sgprAlpha+2:sgprAlpha+2+1], -v[vgprValuC+14:vgprValuC+14+1], v[26:27]
v_fma_f64 v[vgprValuC+14:vgprValuC+14+1], s[sgprAlpha+0:sgprAlpha+0+1], v[vgprValuC+14:vgprValuC+14+1], v[44:45]
v_mul_f64 v[26:27], s[sgprAlpha+0:sgprAlpha+0+1], v[vgprValuC+20:vgprValuC+20+1] // 
v_mul_f64 v[44:45], s[sgprAlpha+2:sgprAlpha+2+1], v[vgprValuC+20:vgprValuC+20+1] // 
v_fma_f64 v[vgprValuC+20:vgprValuC+20+1], s[sgprAlpha+2:sgprAlpha+2+1], -v[vgprValuC+22:vgprValuC+22+1], v[26:27]
v_fma_f64 v[vgprValuC+22:vgprValuC+22+1], s[sgprAlpha+0:sgprAlpha+0+1], v[vgprValuC+22:vgprValuC+22+1], v[44:45]
	;; [unrolled: 4-line block ×4, first 2 shown]
s_waitcnt vmcnt(0)                                 // wait C

/* apply mask, calc new C and issue writes */
v_fma_f64 v[vgprValuC+12:vgprValuC+12+1], v[8:9], s[sgprBeta+0:sgprBeta+0+1], v[vgprValuC+12:vgprValuC+12+1]
v_fma_f64 v[vgprValuC+12:vgprValuC+12+1], v[10:11], -s[sgprBeta+2:sgprBeta+2+1], v[vgprValuC+12:vgprValuC+12+1]
v_fma_f64 v[vgprValuC+14:vgprValuC+14+1], v[8:9], s[sgprBeta+2:sgprBeta+2+1], v[vgprValuC+14:vgprValuC+14+1]
v_fma_f64 v[vgprValuC+14:vgprValuC+14+1], v[10:11], s[sgprBeta+0:sgprBeta+0+1], v[vgprValuC+14:vgprValuC+14+1]
_buffer_store_b128 v[12:15], v6, s[sgprSrdD:sgprSrdD+3], 0, offen, offset:0 // store D
v_fma_f64 v[vgprValuC+20:vgprValuC+20+1], v[16:17], s[sgprBeta+0:sgprBeta+0+1], v[vgprValuC+20:vgprValuC+20+1]
v_fma_f64 v[vgprValuC+20:vgprValuC+20+1], v[18:19], -s[sgprBeta+2:sgprBeta+2+1], v[vgprValuC+20:vgprValuC+20+1]
v_fma_f64 v[vgprValuC+22:vgprValuC+22+1], v[16:17], s[sgprBeta+2:sgprBeta+2+1], v[vgprValuC+22:vgprValuC+22+1]
v_fma_f64 v[vgprValuC+22:vgprValuC+22+1], v[18:19], s[sgprBeta+0:sgprBeta+0+1], v[vgprValuC+22:vgprValuC+22+1]
_buffer_store_b128 v[20:23], v7, s[sgprSrdD:sgprSrdD+3], 0, offen, offset:0 // store D
	;; [unrolled: 5-line block ×4, first 2 shown]
s_nop 0                                            // 1 wait state required when next inst writes vgprs held by previous dwordx4 store inst
/* optSingleColVgpr=0 optSharedColVgpr=0 optSGPRUsage=BufferLoad_Edge_Mask optSrdIncForRow=0 */

/******************************************/
/* Global Write Alpha Beta Edge Batch #3 (d1,d0,vc1,vc0) = */
/*    (0,12,0,0:vw1); (0,13,0,0:vw1); (0,14,0,0:vw1); (0,15,0,0:vw1) */
/******************************************/

/* calc coords, apply mask, and issue loads (if necessary) */
/* (d1,vc1,d0,vc0)=(0,0,12,0) */
s_mov_b32 s58, 96                                  // coordOffset0 d0=12 vc0=0
_v_add_co_u32 v4, vcc, v0, s58                     // coord0.2: coord0 += d0*sg0*VW + vc0
v_cmp_lt_u32 s[58:59], v4, s[sgprSizeI]            // coord0 < size0
v_cmp_lt_u32 s[62:63], v1, s[sgprSizeJ]            // coord1 < size1
s_and_b64 s[62:63], s[58:59], s[62:63]             // in0 && in1
_v_add_lshl_u32 v6, v2, v4, 0x4                    // scaleToBpe: accumulate d0 lower and *= bpe into Cin addr
v_cndmask_b32 v6, -1, v6, s[62:63]                 // LDC clip if OOB. offset
_buffer_load_b128 v[8:11], v6, s[sgprSrdC:sgprSrdC+3], 0, offen offset:0 // load C for beta calc
_v_add_lshl_u32 v6, v3, v4, 0x4                    // scaleToBpe: accumulate d0 lower and *= bpe into Cin addr
v_cndmask_b32 v6, -1, v6, s[62:63]                 // LDD clip if OOB. offset
/* (d1,vc1,d0,vc0)=(0,0,13,0) */
s_mov_b32 s58, 104                                 // coordOffset0 d0=13 vc0=0
_v_add_co_u32 v4, vcc, v0, s58                     // coord0.2: coord0 += d0*sg0*VW + vc0
v_cmp_lt_u32 s[58:59], v4, s[sgprSizeI]            // coord0 < size0
v_cmp_lt_u32 s[62:63], v1, s[sgprSizeJ]            // coord1 < size1
s_and_b64 s[62:63], s[58:59], s[62:63]             // in0 && in1
_v_add_lshl_u32 v7, v2, v4, 0x4                    // scaleToBpe: accumulate d0 lower and *= bpe into Cin addr
v_cndmask_b32 v7, -1, v7, s[62:63]                 // LDC clip if OOB. offset
_buffer_load_b128 v[16:19], v7, s[sgprSrdC:sgprSrdC+3], 0, offen offset:0 // load C for beta calc
_v_add_lshl_u32 v7, v3, v4, 0x4                    // scaleToBpe: accumulate d0 lower and *= bpe into Cin addr
v_cndmask_b32 v7, -1, v7, s[62:63]                 // LDD clip if OOB. offset
/* (d1,vc1,d0,vc0)=(0,0,14,0) */
s_mov_b32 s58, 112                                 // coordOffset0 d0=14 vc0=0
_v_add_co_u32 v4, vcc, v0, s58                     // coord0.2: coord0 += d0*sg0*VW + vc0
v_cmp_lt_u32 s[58:59], v4, s[sgprSizeI]            // coord0 < size0
v_cmp_lt_u32 s[62:63], v1, s[sgprSizeJ]            // coord1 < size1
s_and_b64 s[62:63], s[58:59], s[62:63]             // in0 && in1
_v_add_lshl_u32 v24, v2, v4, 0x4                   // scaleToBpe: accumulate d0 lower and *= bpe into Cin addr
v_cndmask_b32 v24, -1, v24, s[62:63]               // LDC clip if OOB. offset
_buffer_load_b128 v[28:31], v24, s[sgprSrdC:sgprSrdC+3], 0, offen offset:0 // load C for beta calc
_v_add_lshl_u32 v24, v3, v4, 0x4                   // scaleToBpe: accumulate d0 lower and *= bpe into Cin addr
v_cndmask_b32 v24, -1, v24, s[62:63]               // LDD clip if OOB. offset
/* (d1,vc1,d0,vc0)=(0,0,15,0) */
s_mov_b32 s58, 120                                 // coordOffset0 d0=15 vc0=0
_v_add_co_u32 v4, vcc, v0, s58                     // coord0.2: coord0 += d0*sg0*VW + vc0
v_cmp_lt_u32 s[58:59], v4, s[sgprSizeI]            // coord0 < size0
v_cmp_lt_u32 s[62:63], v1, s[sgprSizeJ]            // coord1 < size1
s_and_b64 s[62:63], s[58:59], s[62:63]             // in0 && in1
_v_add_lshl_u32 v25, v2, v4, 0x4                   // scaleToBpe: accumulate d0 lower and *= bpe into Cin addr
v_cndmask_b32 v25, -1, v25, s[62:63]               // LDC clip if OOB. offset
_buffer_load_b128 v[36:39], v25, s[sgprSrdC:sgprSrdC+3], 0, offen offset:0 // load C for beta calc
_v_add_lshl_u32 v25, v3, v4, 0x4                   // scaleToBpe: accumulate d0 lower and *= bpe into Cin addr
v_cndmask_b32 v25, -1, v25, s[62:63]               // LDD clip if OOB. offset
v_accvgpr_read_b32 v[vgprValuC+12], acc24 // copy acc to vreg[48]
v_accvgpr_read_b32 v[vgprValuC+13], acc25 // copy acc to vreg[49]
v_accvgpr_read_b32 v[vgprValuC+14], acc56 // copy acc to vreg[50]
v_accvgpr_read_b32 v[vgprValuC+15], acc57 // copy acc to vreg[51]
v_accvgpr_read_b32 v[vgprValuC+20], acc26 // copy acc to vreg[52]
v_accvgpr_read_b32 v[vgprValuC+21], acc27 // copy acc to vreg[53]
v_accvgpr_read_b32 v[vgprValuC+22], acc58 // copy acc to vreg[54]
v_accvgpr_read_b32 v[vgprValuC+23], acc59 // copy acc to vreg[55]
v_accvgpr_read_b32 v[vgprValuC+32], acc28 // copy acc to vreg[56]
v_accvgpr_read_b32 v[vgprValuC+33], acc29 // copy acc to vreg[57]
v_accvgpr_read_b32 v[vgprValuC+34], acc60 // copy acc to vreg[58]
v_accvgpr_read_b32 v[vgprValuC+35], acc61 // copy acc to vreg[59]
v_accvgpr_read_b32 v[vgprValuC+40], acc30 // copy acc to vreg[60]
v_accvgpr_read_b32 v[vgprValuC+41], acc31 // copy acc to vreg[61]
v_accvgpr_read_b32 v[vgprValuC+42], acc62 // copy acc to vreg[62]
v_accvgpr_read_b32 v[vgprValuC+43], acc63 // copy acc to vreg[63]
s_nop 1                                            // 2 wait states required before reading vgpr

/* rC *= alpha batchElements=[(0, 12, 0, 0), (0, 13, 0, 0), (0, 14, 0, 0), (0, 15, 0, 0)] */
v_mul_f64 v[26:27], s[sgprAlpha+0:sgprAlpha+0+1], v[vgprValuC+12:vgprValuC+12+1] // 
v_mul_f64 v[44:45], s[sgprAlpha+2:sgprAlpha+2+1], v[vgprValuC+12:vgprValuC+12+1] // 
v_fma_f64 v[vgprValuC+12:vgprValuC+12+1], s[sgprAlpha+2:sgprAlpha+2+1], -v[vgprValuC+14:vgprValuC+14+1], v[26:27]
v_fma_f64 v[vgprValuC+14:vgprValuC+14+1], s[sgprAlpha+0:sgprAlpha+0+1], v[vgprValuC+14:vgprValuC+14+1], v[44:45]
v_mul_f64 v[26:27], s[sgprAlpha+0:sgprAlpha+0+1], v[vgprValuC+20:vgprValuC+20+1] // 
v_mul_f64 v[44:45], s[sgprAlpha+2:sgprAlpha+2+1], v[vgprValuC+20:vgprValuC+20+1] // 
v_fma_f64 v[vgprValuC+20:vgprValuC+20+1], s[sgprAlpha+2:sgprAlpha+2+1], -v[vgprValuC+22:vgprValuC+22+1], v[26:27]
v_fma_f64 v[vgprValuC+22:vgprValuC+22+1], s[sgprAlpha+0:sgprAlpha+0+1], v[vgprValuC+22:vgprValuC+22+1], v[44:45]
	;; [unrolled: 4-line block ×4, first 2 shown]
s_waitcnt vmcnt(0)                                 // wait C

/* apply mask, calc new C and issue writes */
v_fma_f64 v[vgprValuC+12:vgprValuC+12+1], v[8:9], s[sgprBeta+0:sgprBeta+0+1], v[vgprValuC+12:vgprValuC+12+1]
v_fma_f64 v[vgprValuC+12:vgprValuC+12+1], v[10:11], -s[sgprBeta+2:sgprBeta+2+1], v[vgprValuC+12:vgprValuC+12+1]
v_fma_f64 v[vgprValuC+14:vgprValuC+14+1], v[8:9], s[sgprBeta+2:sgprBeta+2+1], v[vgprValuC+14:vgprValuC+14+1]
v_fma_f64 v[vgprValuC+14:vgprValuC+14+1], v[10:11], s[sgprBeta+0:sgprBeta+0+1], v[vgprValuC+14:vgprValuC+14+1]
_buffer_store_b128 v[12:15], v6, s[sgprSrdD:sgprSrdD+3], 0, offen, offset:0 // store D
v_fma_f64 v[vgprValuC+20:vgprValuC+20+1], v[16:17], s[sgprBeta+0:sgprBeta+0+1], v[vgprValuC+20:vgprValuC+20+1]
v_fma_f64 v[vgprValuC+20:vgprValuC+20+1], v[18:19], -s[sgprBeta+2:sgprBeta+2+1], v[vgprValuC+20:vgprValuC+20+1]
v_fma_f64 v[vgprValuC+22:vgprValuC+22+1], v[16:17], s[sgprBeta+2:sgprBeta+2+1], v[vgprValuC+22:vgprValuC+22+1]
v_fma_f64 v[vgprValuC+22:vgprValuC+22+1], v[18:19], s[sgprBeta+0:sgprBeta+0+1], v[vgprValuC+22:vgprValuC+22+1]
_buffer_store_b128 v[20:23], v7, s[sgprSrdD:sgprSrdD+3], 0, offen, offset:0 // store D
	;; [unrolled: 5-line block ×4, first 2 shown]
s_nop 0                                            // 1 wait state required when next inst writes vgprs held by previous dwordx4 store inst
s_branch label_GW_End_48                           // jump to end
label_GW_End_48:

label_0053:  /// KernelEnd
s_endpgm                                           // Kernel End

